;; amdgpu-corpus repo=ROCm/rocFFT kind=compiled arch=gfx950 opt=O3
	.text
	.amdgcn_target "amdgcn-amd-amdhsa--gfx950"
	.amdhsa_code_object_version 6
	.protected	bluestein_single_back_len260_dim1_half_op_CI_CI ; -- Begin function bluestein_single_back_len260_dim1_half_op_CI_CI
	.globl	bluestein_single_back_len260_dim1_half_op_CI_CI
	.p2align	8
	.type	bluestein_single_back_len260_dim1_half_op_CI_CI,@function
bluestein_single_back_len260_dim1_half_op_CI_CI: ; @bluestein_single_back_len260_dim1_half_op_CI_CI
; %bb.0:
	s_load_dwordx4 s[8:11], s[0:1], 0x28
	v_mul_u32_u24_e32 v1, 0x9d9, v0
	v_lshrrev_b32_e32 v1, 16, v1
	v_lshl_add_u32 v8, s2, 1, v1
	v_mov_b32_e32 v9, 0
	s_waitcnt lgkmcnt(0)
	v_cmp_gt_u64_e32 vcc, s[8:9], v[8:9]
	s_and_saveexec_b64 s[2:3], vcc
	s_cbranch_execz .LBB0_15
; %bb.1:
	s_load_dwordx2 s[12:13], s[0:1], 0x0
	s_load_dwordx2 s[2:3], s[0:1], 0x38
	v_mul_lo_u16_e32 v2, 26, v1
	v_sub_u16_e32 v9, v0, v2
	v_and_b32_e32 v0, 1, v1
	v_mov_b32_e32 v1, 0x104
	v_cmp_eq_u32_e32 vcc, 1, v0
	v_lshlrev_b32_e32 v22, 2, v9
	s_nop 0
	v_cndmask_b32_e32 v23, 0, v1, vcc
	v_cmp_gt_u16_e32 vcc, 20, v9
	v_lshlrev_b32_e32 v24, 2, v23
	s_and_saveexec_b64 s[8:9], vcc
	s_cbranch_execz .LBB0_3
; %bb.2:
	s_load_dwordx2 s[4:5], s[0:1], 0x18
	v_mov_b32_e32 v0, s10
	v_mov_b32_e32 v1, s11
	s_waitcnt lgkmcnt(0)
	global_load_dword v12, v22, s[12:13]
	v_lshl_add_u32 v30, v9, 2, v24
	s_load_dwordx4 s[4:7], s[4:5], 0x0
	v_add_u32_e32 v33, v24, v22
	s_waitcnt lgkmcnt(0)
	v_mad_u64_u32 v[2:3], s[10:11], s6, v8, 0
	v_mad_u64_u32 v[4:5], s[10:11], s4, v9, 0
	v_mov_b32_e32 v6, v3
	v_mov_b32_e32 v10, v5
	v_mad_u64_u32 v[6:7], s[6:7], s7, v8, v[6:7]
	v_mov_b32_e32 v3, v6
	v_mad_u64_u32 v[6:7], s[6:7], s5, v9, v[10:11]
	v_mov_b32_e32 v5, v6
	v_lshl_add_u64 v[0:1], v[2:3], 2, v[0:1]
	v_lshl_add_u64 v[2:3], v[4:5], 2, v[0:1]
	global_load_dword v10, v[2:3], off
	v_mov_b32_e32 v11, 0x50
	v_mad_u64_u32 v[2:3], s[6:7], s4, v11, v[2:3]
	s_mul_i32 s10, s5, 0x50
	v_add_u32_e32 v3, s10, v3
	global_load_dword v13, v[2:3], off
	global_load_dword v14, v22, s[12:13] offset:80
	v_mad_u64_u32 v[2:3], s[6:7], s4, v11, v[2:3]
	v_add_u32_e32 v3, s10, v3
	global_load_dword v15, v[2:3], off
	global_load_dword v16, v22, s[12:13] offset:160
	v_mad_u64_u32 v[2:3], s[6:7], s4, v11, v[2:3]
	;; [unrolled: 4-line block ×4, first 2 shown]
	v_add_u32_e32 v3, s10, v3
	global_load_dword v21, v[2:3], off
	global_load_dword v25, v22, s[12:13] offset:400
	global_load_dword v26, v22, s[12:13] offset:480
	;; [unrolled: 1-line block ×3, first 2 shown]
	v_mad_u64_u32 v[2:3], s[6:7], s4, v11, v[2:3]
	v_add_u32_e32 v3, s10, v3
	global_load_dword v28, v[2:3], off
	v_or_b32_e32 v7, 0xa0, v9
	v_mad_u64_u32 v[2:3], s[6:7], s4, v11, v[2:3]
	v_mad_u64_u32 v[4:5], s[6:7], s4, v7, 0
	v_add_u32_e32 v3, s10, v3
	global_load_dword v29, v[2:3], off
	v_mov_b32_e32 v6, v5
	v_mad_u64_u32 v[6:7], s[6:7], s5, v7, v[6:7]
	v_mov_b32_e32 v5, v6
	v_lshl_add_u64 v[0:1], v[4:5], 2, v[0:1]
	global_load_dword v4, v[0:1], off
	global_load_dword v5, v22, s[12:13] offset:640
	v_mov_b32_e32 v0, 0xa0
	s_mulk_i32 s5, 0xa0
	v_mad_u64_u32 v[0:1], s[6:7], s4, v0, v[2:3]
	v_add_u32_e32 v1, s5, v1
	global_load_dword v2, v[0:1], off
	global_load_dword v3, v22, s[12:13] offset:720
	v_mad_u64_u32 v[0:1], s[6:7], s4, v11, v[0:1]
	v_add_u32_e32 v1, s10, v1
	global_load_dword v6, v[0:1], off
	global_load_dword v7, v22, s[12:13] offset:800
	;; [unrolled: 4-line block ×4, first 2 shown]
	s_waitcnt vmcnt(24)
	v_lshrrev_b32_e32 v0, 16, v10
	v_mul_f16_sdwa v1, v12, v10 dst_sel:DWORD dst_unused:UNUSED_PAD src0_sel:WORD_1 src1_sel:DWORD
	v_mul_f16_sdwa v35, v12, v0 dst_sel:DWORD dst_unused:UNUSED_PAD src0_sel:WORD_1 src1_sel:DWORD
	v_fma_f16 v0, v12, v0, -v1
	v_fma_f16 v1, v12, v10, v35
	s_waitcnt vmcnt(23)
	v_lshrrev_b32_e32 v10, 16, v13
	v_pack_b32_f16 v0, v1, v0
	s_waitcnt vmcnt(22)
	v_mul_f16_sdwa v1, v14, v10 dst_sel:DWORD dst_unused:UNUSED_PAD src0_sel:WORD_1 src1_sel:DWORD
	ds_write_b32 v30, v0
	v_fma_f16 v0, v14, v13, v1
	v_mul_f16_sdwa v1, v14, v13 dst_sel:DWORD dst_unused:UNUSED_PAD src0_sel:WORD_1 src1_sel:DWORD
	v_fma_f16 v1, v14, v10, -v1
	v_pack_b32_f16 v0, v0, v1
	s_waitcnt vmcnt(21)
	v_lshrrev_b32_e32 v1, 16, v15
	s_waitcnt vmcnt(20)
	v_mul_f16_sdwa v10, v16, v1 dst_sel:DWORD dst_unused:UNUSED_PAD src0_sel:WORD_1 src1_sel:DWORD
	v_mul_f16_sdwa v12, v16, v15 dst_sel:DWORD dst_unused:UNUSED_PAD src0_sel:WORD_1 src1_sel:DWORD
	v_fma_f16 v10, v16, v15, v10
	v_fma_f16 v1, v16, v1, -v12
	v_pack_b32_f16 v1, v10, v1
	ds_write2_b32 v33, v0, v1 offset0:20 offset1:40
	s_waitcnt vmcnt(19)
	v_lshrrev_b32_e32 v0, 16, v17
	s_waitcnt vmcnt(18)
	v_mul_f16_sdwa v1, v18, v0 dst_sel:DWORD dst_unused:UNUSED_PAD src0_sel:WORD_1 src1_sel:DWORD
	v_mul_f16_sdwa v10, v18, v17 dst_sel:DWORD dst_unused:UNUSED_PAD src0_sel:WORD_1 src1_sel:DWORD
	v_fma_f16 v1, v18, v17, v1
	v_fma_f16 v0, v18, v0, -v10
	v_pack_b32_f16 v0, v1, v0
	s_waitcnt vmcnt(17)
	v_lshrrev_b32_e32 v1, 16, v19
	s_waitcnt vmcnt(16)
	v_mul_f16_sdwa v10, v20, v1 dst_sel:DWORD dst_unused:UNUSED_PAD src0_sel:WORD_1 src1_sel:DWORD
	v_mul_f16_sdwa v12, v20, v19 dst_sel:DWORD dst_unused:UNUSED_PAD src0_sel:WORD_1 src1_sel:DWORD
	v_fma_f16 v10, v20, v19, v10
	v_fma_f16 v1, v20, v1, -v12
	v_pack_b32_f16 v1, v10, v1
	ds_write2_b32 v33, v0, v1 offset0:60 offset1:80
	s_waitcnt vmcnt(15)
	v_lshrrev_b32_e32 v0, 16, v21
	s_waitcnt vmcnt(14)
	v_mul_f16_sdwa v1, v25, v0 dst_sel:DWORD dst_unused:UNUSED_PAD src0_sel:WORD_1 src1_sel:DWORD
	v_mul_f16_sdwa v10, v25, v21 dst_sel:DWORD dst_unused:UNUSED_PAD src0_sel:WORD_1 src1_sel:DWORD
	v_fma_f16 v1, v25, v21, v1
	v_fma_f16 v0, v25, v0, -v10
	v_pack_b32_f16 v0, v1, v0
	s_waitcnt vmcnt(11)
	v_lshrrev_b32_e32 v1, 16, v28
	v_mul_f16_sdwa v10, v26, v1 dst_sel:DWORD dst_unused:UNUSED_PAD src0_sel:WORD_1 src1_sel:DWORD
	v_mul_f16_sdwa v12, v26, v28 dst_sel:DWORD dst_unused:UNUSED_PAD src0_sel:WORD_1 src1_sel:DWORD
	v_fma_f16 v10, v26, v28, v10
	v_fma_f16 v1, v26, v1, -v12
	v_pack_b32_f16 v1, v10, v1
	ds_write2_b32 v33, v0, v1 offset0:100 offset1:120
	s_waitcnt vmcnt(10)
	v_lshrrev_b32_e32 v0, 16, v29
	v_mul_f16_sdwa v1, v27, v0 dst_sel:DWORD dst_unused:UNUSED_PAD src0_sel:WORD_1 src1_sel:DWORD
	v_mul_f16_sdwa v10, v27, v29 dst_sel:DWORD dst_unused:UNUSED_PAD src0_sel:WORD_1 src1_sel:DWORD
	v_fma_f16 v1, v27, v29, v1
	v_fma_f16 v0, v27, v0, -v10
	v_pack_b32_f16 v0, v1, v0
	s_waitcnt vmcnt(9)
	v_lshrrev_b32_e32 v1, 16, v4
	s_waitcnt vmcnt(8)
	v_mul_f16_sdwa v10, v5, v1 dst_sel:DWORD dst_unused:UNUSED_PAD src0_sel:WORD_1 src1_sel:DWORD
	v_fma_f16 v10, v5, v4, v10
	v_mul_f16_sdwa v4, v5, v4 dst_sel:DWORD dst_unused:UNUSED_PAD src0_sel:WORD_1 src1_sel:DWORD
	v_fma_f16 v1, v5, v1, -v4
	v_pack_b32_f16 v1, v10, v1
	ds_write2_b32 v33, v0, v1 offset0:140 offset1:160
	s_waitcnt vmcnt(7)
	v_lshrrev_b32_e32 v0, 16, v2
	s_waitcnt vmcnt(6)
	v_mul_f16_sdwa v1, v3, v0 dst_sel:DWORD dst_unused:UNUSED_PAD src0_sel:WORD_1 src1_sel:DWORD
	v_fma_f16 v1, v3, v2, v1
	v_mul_f16_sdwa v2, v3, v2 dst_sel:DWORD dst_unused:UNUSED_PAD src0_sel:WORD_1 src1_sel:DWORD
	v_fma_f16 v0, v3, v0, -v2
	v_pack_b32_f16 v0, v1, v0
	s_waitcnt vmcnt(5)
	v_lshrrev_b32_e32 v1, 16, v6
	s_waitcnt vmcnt(4)
	v_mul_f16_sdwa v2, v7, v1 dst_sel:DWORD dst_unused:UNUSED_PAD src0_sel:WORD_1 src1_sel:DWORD
	v_mul_f16_sdwa v3, v7, v6 dst_sel:DWORD dst_unused:UNUSED_PAD src0_sel:WORD_1 src1_sel:DWORD
	v_fma_f16 v2, v7, v6, v2
	v_fma_f16 v1, v7, v1, -v3
	v_pack_b32_f16 v1, v2, v1
	ds_write2_b32 v33, v0, v1 offset0:180 offset1:200
	s_waitcnt vmcnt(3)
	v_lshrrev_b32_e32 v0, 16, v31
	s_waitcnt vmcnt(2)
	v_mul_f16_sdwa v1, v32, v0 dst_sel:DWORD dst_unused:UNUSED_PAD src0_sel:WORD_1 src1_sel:DWORD
	v_mul_f16_sdwa v2, v32, v31 dst_sel:DWORD dst_unused:UNUSED_PAD src0_sel:WORD_1 src1_sel:DWORD
	v_fma_f16 v1, v32, v31, v1
	v_fma_f16 v0, v32, v0, -v2
	v_pack_b32_f16 v0, v1, v0
	s_waitcnt vmcnt(1)
	v_lshrrev_b32_e32 v1, 16, v11
	s_waitcnt vmcnt(0)
	v_mul_f16_sdwa v2, v34, v1 dst_sel:DWORD dst_unused:UNUSED_PAD src0_sel:WORD_1 src1_sel:DWORD
	v_mul_f16_sdwa v3, v34, v11 dst_sel:DWORD dst_unused:UNUSED_PAD src0_sel:WORD_1 src1_sel:DWORD
	v_fma_f16 v2, v34, v11, v2
	v_fma_f16 v1, v34, v1, -v3
	v_pack_b32_f16 v1, v2, v1
	ds_write2_b32 v33, v0, v1 offset0:220 offset1:240
.LBB0_3:
	s_or_b64 exec, exec, s[8:9]
	s_load_dwordx2 s[6:7], s[0:1], 0x20
	s_load_dwordx2 s[4:5], s[0:1], 0x8
	v_mov_b32_e32 v0, 0
	s_waitcnt lgkmcnt(0)
	; wave barrier
	s_waitcnt lgkmcnt(0)
                                        ; implicit-def: $vgpr14
                                        ; implicit-def: $vgpr21
                                        ; implicit-def: $vgpr31
                                        ; implicit-def: $vgpr36
                                        ; implicit-def: $vgpr33
                                        ; implicit-def: $vgpr13
                                        ; implicit-def: $vgpr34
                                        ; implicit-def: $vgpr35
                                        ; implicit-def: $vgpr7
                                        ; implicit-def: $vgpr32
                                        ; implicit-def: $vgpr19
                                        ; implicit-def: $vgpr5
                                        ; implicit-def: $vgpr16
                                        ; implicit-def: $vgpr17
                                        ; implicit-def: $vgpr3
                                        ; implicit-def: $vgpr18
                                        ; implicit-def: $vgpr20
                                        ; implicit-def: $vgpr30
	s_and_saveexec_b64 s[0:1], vcc
	s_cbranch_execz .LBB0_5
; %bb.4:
	v_lshl_add_u32 v10, v23, 2, v22
	ds_read2_b32 v[0:1], v10 offset1:20
	ds_read2_b32 v[2:3], v10 offset0:40 offset1:60
	ds_read2_b32 v[4:5], v10 offset0:80 offset1:100
	;; [unrolled: 1-line block ×5, first 2 shown]
	ds_read_b32 v36, v10 offset:960
	s_waitcnt lgkmcnt(0)
	v_lshrrev_b32_e32 v30, 16, v1
	v_lshrrev_b32_e32 v20, 16, v2
	;; [unrolled: 1-line block ×12, first 2 shown]
.LBB0_5:
	s_or_b64 exec, exec, s[0:1]
	v_sub_f16_e32 v75, v30, v33
	v_add_f16_e32 v43, v36, v1
	v_sub_f16_e32 v49, v1, v36
	s_movk_i32 s9, 0x3b15
	v_mul_f16_e32 v37, 0xb770, v75
	v_add_f16_e32 v53, v33, v30
	v_mul_f16_e32 v38, 0xb770, v49
	v_fma_f16 v10, v43, s9, v37
	v_add_f16_e32 v25, v10, v0
	v_fma_f16 v10, v53, s9, -v38
	s_movk_i32 s8, 0x388b
	v_mul_f16_e32 v39, 0xba95, v75
	v_sub_f16_e32 v80, v20, v31
	v_add_f16_sdwa v26, v10, v0 dst_sel:DWORD dst_unused:UNUSED_PAD src0_sel:DWORD src1_sel:WORD_1
	v_fma_f16 v10, v43, s8, v39
	s_movk_i32 s10, 0x2fb7
	v_mul_f16_e32 v41, 0xbbf1, v75
	v_add_f16_e32 v46, v15, v2
	s_mov_b32 s14, 0xb5ac
	v_mul_f16_e32 v40, 0xbb7b, v80
	v_add_f16_e32 v10, v10, v0
	v_fma_f16 v11, v43, s10, v41
	v_fma_f16 v27, v46, s14, v40
	s_mov_b32 s11, 0xbbc4
	v_mul_f16_e32 v44, 0xb3a8, v80
	v_sub_f16_e32 v87, v18, v21
	v_add_f16_e32 v11, v11, v0
	v_add_f16_e32 v10, v27, v10
	v_fma_f16 v27, v46, s11, v44
	v_add_f16_e32 v50, v14, v3
	v_mul_f16_e32 v42, 0xb3a8, v87
	v_add_f16_e32 v11, v27, v11
	v_fma_f16 v27, v50, s11, v42
	v_mul_f16_e32 v47, 0x3b7b, v87
	v_sub_f16_e32 v91, v17, v34
	v_add_f16_e32 v10, v27, v10
	v_fma_f16 v27, v50, s14, v47
	v_add_f16_e32 v55, v13, v4
	s_mov_b32 s15, 0xb9fd
	v_mul_f16_e32 v45, 0x394e, v91
	v_add_f16_e32 v11, v27, v11
	v_fma_f16 v27, v55, s15, v45
	v_mul_f16_e32 v51, 0x3770, v91
	v_sub_f16_e32 v95, v16, v35
	v_add_f16_e32 v10, v27, v10
	v_fma_f16 v27, v55, s9, v51
	v_add_f16_e32 v59, v12, v5
	v_mul_f16_e32 v48, 0x3bf1, v95
	v_add_f16_e32 v11, v27, v11
	v_fma_f16 v27, v59, s10, v48
	v_mul_f16_e32 v56, 0xba95, v95
	v_sub_f16_e32 v96, v19, v32
	v_add_f16_e32 v10, v27, v10
	v_fma_f16 v27, v59, s8, v56
	v_add_f16_e32 v64, v7, v6
	v_mul_f16_e32 v54, 0x3770, v96
	v_add_f16_e32 v27, v27, v11
	v_fma_f16 v11, v64, s9, v54
	v_mul_f16_e32 v62, 0xb94e, v96
	v_add_f16_e32 v11, v11, v10
	v_fma_f16 v10, v64, s15, v62
	v_mul_f16_e32 v52, 0xba95, v80
	v_sub_f16_e32 v89, v2, v15
	v_add_f16_e32 v10, v10, v27
	v_fma_f16 v27, v46, s8, v52
	v_add_f16_e32 v86, v31, v20
	v_mul_f16_e32 v57, 0xba95, v89
	v_add_f16_e32 v25, v27, v25
	v_fma_f16 v27, v86, s8, -v57
	v_mul_f16_e32 v65, 0xba95, v49
	v_add_f16_e32 v26, v27, v26
	v_fma_f16 v27, v53, s8, -v65
	v_mul_f16_e32 v66, 0xbb7b, v89
	v_add_f16_sdwa v27, v27, v0 dst_sel:DWORD dst_unused:UNUSED_PAD src0_sel:DWORD src1_sel:WORD_1
	v_fma_f16 v28, v86, s14, -v66
	v_mul_f16_e32 v73, 0xbbf1, v49
	v_add_f16_e32 v27, v28, v27
	v_fma_f16 v28, v53, s10, -v73
	v_mul_f16_e32 v74, 0xb3a8, v89
	v_add_f16_sdwa v28, v28, v0 dst_sel:DWORD dst_unused:UNUSED_PAD src0_sel:DWORD src1_sel:WORD_1
	v_fma_f16 v29, v86, s11, -v74
	v_mul_f16_e32 v58, 0xbbf1, v87
	v_sub_f16_e32 v90, v3, v14
	v_add_f16_e32 v28, v29, v28
	v_fma_f16 v29, v50, s10, v58
	v_add_f16_e32 v88, v21, v18
	v_mul_f16_e32 v61, 0xbbf1, v90
	v_add_f16_e32 v25, v29, v25
	v_fma_f16 v29, v88, s10, -v61
	v_mul_f16_e32 v70, 0xb3a8, v90
	v_add_f16_e32 v26, v29, v26
	v_fma_f16 v29, v88, s11, -v70
	v_mul_f16_e32 v77, 0x3b7b, v90
	v_add_f16_e32 v27, v29, v27
	v_fma_f16 v29, v88, s14, -v77
	v_mul_f16_e32 v60, 0xbb7b, v91
	v_sub_f16_e32 v92, v4, v13
	v_add_f16_e32 v28, v29, v28
	v_fma_f16 v29, v55, s14, v60
	v_add_f16_e32 v85, v34, v17
	v_mul_f16_e32 v67, 0xbb7b, v92
	v_add_f16_e32 v25, v29, v25
	v_fma_f16 v29, v85, s14, -v67
	v_mul_f16_e32 v72, 0x394e, v92
	v_add_f16_e32 v26, v29, v26
	v_fma_f16 v29, v85, s15, -v72
	v_mul_f16_e32 v79, 0x3770, v92
	v_add_f16_e32 v27, v29, v27
	;; [unrolled: 14-line block ×4, first 2 shown]
	v_fma_f16 v25, v84, s15, -v83
	v_add_f16_e32 v29, v25, v97
	s_mov_b32 s25, 0xb770
	s_mov_b32 s20, 0xba95
	;; [unrolled: 1-line block ×5, first 2 shown]
	s_movk_i32 s24, 0x3b7b
	s_movk_i32 s18, 0x394e
	;; [unrolled: 1-line block ×3, first 2 shown]
	s_mov_b32 s22, 0xb94e
	s_movk_i32 s21, 0x3bf1
	v_mul_lo_u16_e32 v25, 13, v9
	s_waitcnt lgkmcnt(0)
	; wave barrier
	s_waitcnt lgkmcnt(0)
	s_and_saveexec_b64 s[0:1], vcc
	s_cbranch_execz .LBB0_7
; %bb.6:
	v_mul_f16_e32 v97, 0xb5ac, v53
	v_fma_f16 v98, v49, s24, v97
	v_mul_f16_e32 v99, 0xb9fd, v86
	v_add_f16_sdwa v98, v98, v0 dst_sel:DWORD dst_unused:UNUSED_PAD src0_sel:DWORD src1_sel:WORD_1
	v_fma_f16 v100, v89, s22, v99
	v_add_f16_e32 v98, v100, v98
	v_mul_f16_e32 v100, 0x3b15, v88
	v_fma_f16 v101, v90, s25, v100
	v_add_f16_e32 v98, v101, v98
	v_mul_f16_e32 v101, 0x2fb7, v85
	v_fma_f16 v102, v92, s21, v101
	v_add_f16_e32 v98, v102, v98
	v_mul_f16_e32 v102, 0xbbc4, v82
	v_fma_f16 v103, v93, s23, v102
	v_add_f16_e32 v98, v103, v98
	v_mul_f16_e32 v103, 0x388b, v84
	v_fma_f16 v104, v94, s20, v103
	v_add_f16_e32 v98, v104, v98
	v_mul_f16_e32 v104, 0xbb7b, v75
	v_fma_f16 v105, v43, s14, v104
	v_mul_f16_e32 v106, 0x394e, v80
	v_add_f16_e32 v105, v105, v0
	v_fma_f16 v107, v46, s15, v106
	v_add_f16_e32 v105, v107, v105
	v_mul_f16_e32 v107, 0x3770, v87
	v_fma_f16 v108, v50, s9, v107
	v_add_f16_e32 v105, v108, v105
	v_mul_f16_e32 v108, 0xbbf1, v91
	;; [unrolled: 3-line block ×5, first 2 shown]
	v_fma_f16 v112, v49, s18, v111
	v_mul_f16_e32 v113, 0x2fb7, v86
	v_add_f16_sdwa v112, v112, v0 dst_sel:DWORD dst_unused:UNUSED_PAD src0_sel:DWORD src1_sel:WORD_1
	v_fma_f16 v114, v89, s16, v113
	s_movk_i32 s26, 0x3a95
	v_add_f16_e32 v112, v114, v112
	v_mul_f16_e32 v114, 0x388b, v88
	v_fma_f16 v115, v90, s26, v114
	v_add_f16_e32 v112, v115, v112
	v_mul_f16_e32 v115, 0xbbc4, v85
	v_fma_f16 v116, v92, s23, v115
	v_add_f16_e32 v112, v116, v112
	v_mul_f16_e32 v116, 0x3b15, v82
	v_fma_f16 v117, v93, s25, v116
	v_add_f16_e32 v112, v117, v112
	v_mul_f16_e32 v117, 0xb5ac, v84
	v_fma_f16 v118, v94, s24, v117
	v_add_f16_e32 v112, v118, v112
	v_mul_f16_e32 v118, 0xb94e, v75
	v_fma_f16 v119, v43, s15, v118
	v_mul_f16_e32 v120, 0x3bf1, v80
	v_add_f16_e32 v119, v119, v0
	v_fma_f16 v121, v46, s10, v120
	v_add_f16_e32 v119, v121, v119
	v_mul_f16_e32 v121, 0xba95, v87
	v_fma_f16 v122, v50, s8, v121
	v_add_f16_e32 v119, v122, v119
	v_mul_f16_e32 v122, 0x33a8, v91
	;; [unrolled: 3-line block ×4, first 2 shown]
	v_fma_f16 v125, v64, s14, v124
	v_add_f16_e32 v119, v125, v119
	s_movk_i32 s27, 0x33a8
	v_mul_f16_e32 v125, 0xbbc4, v53
	v_fma_f16 v126, v49, s27, v125
	v_mul_f16_e32 v127, 0x3b15, v86
	v_add_f16_sdwa v126, v126, v0 dst_sel:DWORD dst_unused:UNUSED_PAD src0_sel:DWORD src1_sel:WORD_1
	v_fma_f16 v128, v89, s25, v127
	v_add_f16_e32 v126, v128, v126
	v_mul_f16_e32 v128, 0xb9fd, v88
	v_fma_f16 v129, v90, s18, v128
	v_add_f16_e32 v126, v129, v126
	v_mul_f16_e32 v129, 0x388b, v85
	;; [unrolled: 3-line block ×4, first 2 shown]
	v_fma_f16 v132, v94, s16, v131
	v_mul_f16_e32 v75, 0xb3a8, v75
	v_add_f16_e32 v126, v132, v126
	v_fma_f16 v132, v43, s11, v75
	v_mul_f16_e32 v80, 0x3770, v80
	v_fma_f16 v75, v43, s11, -v75
	v_fma_f16 v133, v46, s9, v80
	v_mul_f16_e32 v87, 0xb94e, v87
	v_add_f16_e32 v75, v75, v0
	v_fma_f16 v80, v46, s9, -v80
	v_mul_f16_e32 v91, 0x3a95, v91
	v_add_f16_e32 v75, v80, v75
	v_fma_f16 v80, v50, s15, -v87
	v_add_f16_e32 v132, v132, v0
	v_mul_f16_e32 v95, 0xbb7b, v95
	v_add_f16_e32 v75, v80, v75
	v_fma_f16 v80, v55, s8, -v91
	v_add_f16_e32 v132, v133, v132
	v_fma_f16 v133, v50, s15, v87
	v_mul_f16_e32 v96, 0x3bf1, v96
	v_add_f16_e32 v75, v80, v75
	v_fma_f16 v80, v59, s14, -v95
	v_add_f16_e32 v132, v133, v132
	v_fma_f16 v133, v55, s8, v91
	v_add_f16_e32 v75, v80, v75
	v_fma_f16 v80, v64, s10, -v96
	v_add_f16_e32 v132, v133, v132
	v_fma_f16 v133, v59, s14, v95
	v_add_f16_e32 v75, v80, v75
	v_fma_f16 v80, v49, s22, v111
	;; [unrolled: 2-line block ×3, first 2 shown]
	v_add_f16_sdwa v80, v80, v0 dst_sel:DWORD dst_unused:UNUSED_PAD src0_sel:DWORD src1_sel:WORD_1
	v_fma_f16 v87, v89, s21, v113
	v_fma_f16 v96, v43, s15, -v118
	v_add_f16_e32 v80, v87, v80
	v_fma_f16 v87, v90, s20, v114
	v_add_f16_e32 v96, v96, v0
	v_fma_f16 v111, v46, s10, -v120
	v_add_f16_e32 v80, v87, v80
	v_fma_f16 v87, v92, s27, v115
	v_add_f16_e32 v96, v111, v96
	v_fma_f16 v113, v50, s8, -v121
	v_fma_f16 v125, v49, s23, v125
	v_add_f16_e32 v80, v87, v80
	v_fma_f16 v91, v93, s17, v116
	v_add_f16_e32 v96, v113, v96
	v_fma_f16 v114, v55, s11, -v122
	v_fma_f16 v49, v49, s19, v97
	v_add_f16_sdwa v125, v125, v0 dst_sel:DWORD dst_unused:UNUSED_PAD src0_sel:DWORD src1_sel:WORD_1
	v_fma_f16 v127, v89, s17, v127
	v_add_f16_e32 v80, v91, v80
	v_fma_f16 v95, v94, s19, v117
	v_add_f16_e32 v96, v114, v96
	v_fma_f16 v115, v59, s9, -v123
	v_fma_f16 v89, v89, s18, v99
	v_add_f16_sdwa v49, v49, v0 dst_sel:DWORD dst_unused:UNUSED_PAD src0_sel:DWORD src1_sel:WORD_1
	v_add_f16_e32 v125, v127, v125
	v_fma_f16 v127, v90, s22, v128
	v_mul_f16_e32 v87, 0x3b15, v43
	v_add_f16_e32 v80, v95, v80
	v_mul_f16_e32 v95, 0x388b, v43
	v_mul_f16_e32 v113, 0x2fb7, v43
	v_add_f16_e32 v96, v115, v96
	v_fma_f16 v116, v64, s14, -v124
	v_add_f16_e32 v49, v89, v49
	v_fma_f16 v90, v90, s17, v100
	v_fma_f16 v43, v43, s14, -v104
	v_add_f16_e32 v125, v127, v125
	v_fma_f16 v127, v92, s26, v129
	v_mul_f16_e32 v114, 0x388b, v46
	v_add_f16_e32 v96, v116, v96
	v_mul_f16_e32 v116, 0xb5ac, v46
	v_mul_f16_e32 v99, 0xbbc4, v46
	v_add_f16_e32 v49, v90, v49
	v_fma_f16 v92, v92, s16, v101
	v_fma_f16 v46, v46, s15, -v106
	v_add_f16_e32 v43, v43, v0
	v_sub_f16_e32 v41, v113, v41
	v_add_f16_e32 v125, v127, v125
	v_fma_f16 v127, v93, s19, v130
	v_mul_f16_e32 v89, 0x2fb7, v50
	v_mul_f16_e32 v90, 0xbbc4, v50
	v_add_f16_e32 v49, v92, v49
	v_mul_f16_e32 v92, 0xb5ac, v50
	v_add_f16_e32 v43, v46, v43
	v_fma_f16 v50, v50, s9, -v107
	v_add_f16_e32 v41, v41, v0
	v_sub_f16_e32 v44, v99, v44
	v_add_f16_e32 v125, v127, v125
	v_fma_f16 v127, v94, s21, v131
	v_fma_f16 v93, v93, s27, v102
	v_mul_f16_e32 v102, 0xb5ac, v55
	v_fma_f16 v94, v94, s26, v103
	v_mul_f16_e32 v103, 0xb9fd, v55
	v_mul_f16_e32 v104, 0x3b15, v55
	v_add_f16_e32 v43, v50, v43
	v_fma_f16 v55, v55, s10, -v108
	v_add_f16_e32 v41, v44, v41
	v_sub_f16_e32 v44, v92, v47
	v_sub_f16_e32 v39, v95, v39
	v_mul_f16_e32 v106, 0xb9fd, v59
	v_mul_f16_e32 v107, 0x2fb7, v59
	;; [unrolled: 1-line block ×3, first 2 shown]
	v_add_f16_e32 v43, v55, v43
	v_fma_f16 v59, v59, s11, -v109
	v_add_f16_e32 v41, v44, v41
	v_sub_f16_e32 v44, v104, v51
	v_add_f16_e32 v39, v39, v0
	v_sub_f16_e32 v40, v116, v40
	v_mul_f16_e32 v55, 0xbbc4, v64
	v_add_f16_e32 v43, v59, v43
	v_mul_f16_e32 v59, 0x3b15, v64
	v_fma_f16 v110, v64, s8, -v110
	v_mul_f16_e32 v64, 0xb9fd, v64
	v_add_f16_e32 v41, v44, v41
	v_sub_f16_e32 v44, v108, v56
	v_add_f16_e32 v39, v40, v39
	v_sub_f16_e32 v40, v90, v42
	v_mul_f16_e32 v91, 0x3b15, v53
	v_mul_f16_e32 v111, 0x388b, v53
	;; [unrolled: 1-line block ×3, first 2 shown]
	v_add_f16_e32 v41, v44, v41
	v_sub_f16_e32 v44, v64, v62
	v_add_f16_e32 v39, v40, v39
	v_sub_f16_e32 v40, v103, v45
	v_add_f16_e32 v53, v73, v53
	v_add_f16_e32 v41, v44, v41
	;; [unrolled: 1-line block ×4, first 2 shown]
	v_sub_f16_e32 v40, v107, v48
	v_add_f16_e32 v38, v38, v91
	v_sub_f16_e32 v37, v87, v37
	v_mul_f16_e32 v115, 0x388b, v86
	v_add_f16_sdwa v53, v53, v0 dst_sel:DWORD dst_unused:UNUSED_PAD src0_sel:DWORD src1_sel:WORD_1
	v_add_f16_sdwa v44, v44, v0 dst_sel:DWORD dst_unused:UNUSED_PAD src0_sel:DWORD src1_sel:WORD_1
	v_add_f16_e32 v39, v40, v39
	v_sub_f16_e32 v40, v59, v54
	v_add_f16_sdwa v38, v38, v0 dst_sel:DWORD dst_unused:UNUSED_PAD src0_sel:DWORD src1_sel:WORD_1
	v_add_f16_e32 v37, v37, v0
	v_add_f16_e32 v1, v1, v0
	v_add_f16_sdwa v0, v30, v0 dst_sel:DWORD dst_unused:UNUSED_PAD src0_sel:DWORD src1_sel:WORD_1
	v_mul_f16_e32 v100, 0x2fb7, v88
	v_add_f16_e32 v39, v40, v39
	v_add_f16_e32 v40, v57, v115
	;; [unrolled: 1-line block ×5, first 2 shown]
	v_mul_f16_e32 v93, 0xb5ac, v85
	v_add_f16_e32 v38, v40, v38
	v_add_f16_e32 v40, v61, v100
	v_add_f16_e32 v1, v3, v1
	v_add_f16_e32 v0, v18, v0
	v_mul_f16_e32 v46, 0xb9fd, v82
	v_add_f16_e32 v38, v40, v38
	v_add_f16_e32 v40, v67, v93
	v_add_f16_e32 v1, v4, v1
	v_add_f16_e32 v0, v17, v0
	v_mul_f16_e32 v109, 0xbbc4, v84
	v_add_f16_e32 v38, v40, v38
	v_add_f16_e32 v40, v69, v46
	v_add_f16_e32 v1, v5, v1
	v_add_f16_e32 v0, v16, v0
	v_add_f16_e32 v38, v40, v38
	v_add_f16_e32 v40, v71, v109
	;; [unrolled: 1-line block ×4, first 2 shown]
	v_mul_f16_e32 v97, 0xb5ac, v86
	v_mul_f16_e32 v86, 0xbbc4, v86
	v_add_f16_e32 v38, v40, v38
	v_sub_f16_e32 v40, v114, v52
	v_add_f16_e32 v1, v7, v1
	v_add_f16_e32 v0, v32, v0
	v_mul_f16_e32 v101, 0xbbc4, v88
	v_mul_f16_e32 v88, 0xb5ac, v88
	v_add_f16_e32 v73, v74, v86
	v_add_f16_e32 v47, v66, v97
	;; [unrolled: 1-line block ×3, first 2 shown]
	v_sub_f16_e32 v40, v89, v58
	v_add_f16_e32 v1, v12, v1
	v_add_f16_e32 v0, v35, v0
	;; [unrolled: 1-line block ×3, first 2 shown]
	v_mul_f16_e32 v94, 0xb9fd, v85
	v_mul_f16_e32 v85, 0x3b15, v85
	v_add_f16_e32 v53, v73, v53
	v_add_f16_e32 v73, v77, v88
	;; [unrolled: 1-line block ×5, first 2 shown]
	v_sub_f16_e32 v40, v102, v60
	v_add_f16_e32 v1, v13, v1
	v_add_f16_e32 v0, v34, v0
	v_mul_f16_e32 v50, 0x2fb7, v82
	v_mul_f16_e32 v82, 0x388b, v82
	v_add_f16_e32 v53, v73, v53
	v_add_f16_e32 v73, v79, v85
	;; [unrolled: 1-line block ×5, first 2 shown]
	v_sub_f16_e32 v40, v106, v63
	v_add_f16_e32 v1, v14, v1
	v_add_f16_e32 v0, v21, v0
	;; [unrolled: 1-line block ×3, first 2 shown]
	v_mul_f16_e32 v110, 0x3b15, v84
	v_mul_f16_e32 v84, 0xb9fd, v84
	v_add_f16_e32 v53, v73, v53
	v_add_f16_e32 v73, v81, v82
	;; [unrolled: 1-line block ×5, first 2 shown]
	v_sub_f16_e32 v40, v55, v68
	v_add_f16_e32 v1, v15, v1
	v_add_f16_e32 v0, v31, v0
	;; [unrolled: 1-line block ×11, first 2 shown]
	v_add_lshl_u32 v2, v23, v25, 2
	v_pack_b32_f16 v3, v37, v38
	v_pack_b32_f16 v0, v1, v0
	ds_write2_b32 v2, v0, v3 offset1:1
	v_pack_b32_f16 v0, v41, v53
	v_pack_b32_f16 v1, v39, v44
	v_add_f16_e32 v132, v133, v132
	v_add_f16_e32 v125, v127, v125
	ds_write2_b32 v2, v1, v0 offset0:2 offset1:3
	v_pack_b32_f16 v0, v96, v80
	v_pack_b32_f16 v1, v43, v49
	ds_write2_b32 v2, v1, v0 offset0:4 offset1:5
	v_pack_b32_f16 v0, v132, v126
	v_pack_b32_f16 v1, v75, v125
	;; [unrolled: 3-line block ×3, first 2 shown]
	s_mov_b32 s8, 0x5040100
	ds_write2_b32 v2, v1, v0 offset0:8 offset1:9
	v_perm_b32 v0, v28, v11, s8
	v_perm_b32 v1, v29, v10, s8
	ds_write2_b32 v2, v1, v0 offset0:10 offset1:11
	v_perm_b32 v0, v26, v27, s8
	ds_write_b32 v2, v0 offset:48
.LBB0_7:
	s_or_b64 exec, exec, s[0:1]
	v_add_u32_e32 v0, -13, v9
	v_cmp_gt_u16_e64 s[0:1], 13, v9
	s_load_dwordx4 s[8:11], s[6:7], 0x0
	s_waitcnt lgkmcnt(0)
	v_cndmask_b32_e64 v32, v0, v9, s[0:1]
	v_mul_hi_i32_i24_e32 v1, 36, v32
	v_mul_i32_i24_e32 v0, 36, v32
	v_lshl_add_u64 v[12:13], s[4:5], 0, v[0:1]
	; wave barrier
	global_load_dwordx4 v[0:3], v[12:13], off
	global_load_dwordx4 v[4:7], v[12:13], off offset:16
	global_load_dword v31, v[12:13], off offset:32
	v_add_lshl_u32 v30, v23, v9, 2
	ds_read2_b32 v[12:13], v30 offset1:26
	ds_read2_b32 v[14:15], v30 offset0:52 offset1:78
	ds_read2_b32 v[16:17], v30 offset0:104 offset1:130
	;; [unrolled: 1-line block ×4, first 2 shown]
	s_waitcnt lgkmcnt(4)
	v_lshrrev_b32_e32 v34, 16, v13
	s_waitcnt lgkmcnt(3)
	v_lshrrev_b32_e32 v35, 16, v14
	;; [unrolled: 2-line block ×5, first 2 shown]
	v_lshrrev_b32_e32 v36, 16, v15
	s_movk_i32 s0, 0x3b9c
	s_mov_b32 s7, 0xbb9c
	s_movk_i32 s1, 0x38b4
	s_mov_b32 s14, 0xb8b4
	v_lshrrev_b32_e32 v33, 16, v12
	s_movk_i32 s6, 0x34f2
	v_lshrrev_b32_e32 v38, 16, v17
	v_lshrrev_b32_e32 v40, 16, v19
	;; [unrolled: 1-line block ×3, first 2 shown]
	s_movk_i32 s15, 0x3a79
	s_waitcnt lgkmcnt(0)
	; wave barrier
	s_waitcnt vmcnt(2)
	v_mul_f16_sdwa v49, v37, v3 dst_sel:DWORD dst_unused:UNUSED_PAD src0_sel:DWORD src1_sel:WORD_1
	s_waitcnt vmcnt(1)
	v_mul_f16_sdwa v53, v39, v5 dst_sel:DWORD dst_unused:UNUSED_PAD src0_sel:DWORD src1_sel:WORD_1
	v_mul_f16_sdwa v44, v13, v0 dst_sel:DWORD dst_unused:UNUSED_PAD src0_sel:DWORD src1_sel:WORD_1
	v_mul_f16_sdwa v45, v35, v1 dst_sel:DWORD dst_unused:UNUSED_PAD src0_sel:DWORD src1_sel:WORD_1
	v_mul_f16_sdwa v46, v14, v1 dst_sel:DWORD dst_unused:UNUSED_PAD src0_sel:DWORD src1_sel:WORD_1
	v_mul_f16_sdwa v50, v16, v3 dst_sel:DWORD dst_unused:UNUSED_PAD src0_sel:DWORD src1_sel:WORD_1
	v_mul_f16_sdwa v54, v18, v5 dst_sel:DWORD dst_unused:UNUSED_PAD src0_sel:DWORD src1_sel:WORD_1
	v_mul_f16_sdwa v57, v41, v7 dst_sel:DWORD dst_unused:UNUSED_PAD src0_sel:DWORD src1_sel:WORD_1
	v_mul_f16_sdwa v58, v20, v7 dst_sel:DWORD dst_unused:UNUSED_PAD src0_sel:DWORD src1_sel:WORD_1
	v_fma_f16 v16, v16, v3, -v49
	v_fma_f16 v18, v18, v5, -v53
	v_mul_f16_sdwa v43, v34, v0 dst_sel:DWORD dst_unused:UNUSED_PAD src0_sel:DWORD src1_sel:WORD_1
	v_mul_f16_sdwa v47, v36, v2 dst_sel:DWORD dst_unused:UNUSED_PAD src0_sel:DWORD src1_sel:WORD_1
	;; [unrolled: 1-line block ×3, first 2 shown]
	v_fma_f16 v34, v34, v0, v44
	v_fma_f16 v14, v14, v1, -v45
	v_fma_f16 v35, v35, v1, v46
	v_fma_f16 v20, v20, v7, -v57
	v_fma_f16 v41, v41, v7, v58
	v_add_f16_e32 v44, v16, v18
	v_fma_f16 v15, v15, v2, -v47
	v_fma_f16 v36, v36, v2, v48
	v_fma_f16 v37, v37, v3, v50
	;; [unrolled: 1-line block ×3, first 2 shown]
	v_sub_f16_e32 v45, v35, v41
	v_sub_f16_e32 v47, v14, v16
	;; [unrolled: 1-line block ×3, first 2 shown]
	v_add_f16_e32 v49, v14, v20
	v_fma_f16 v44, v44, -0.5, v12
	v_fma_f16 v13, v13, v0, -v43
	v_add_f16_e32 v43, v12, v14
	v_sub_f16_e32 v46, v37, v39
	v_add_f16_e32 v47, v47, v48
	v_fma_f16 v12, v49, -0.5, v12
	v_fma_f16 v48, v45, s0, v44
	v_fma_f16 v44, v45, s7, v44
	v_add_f16_e32 v43, v43, v16
	v_fma_f16 v49, v46, s7, v12
	v_fma_f16 v48, v46, s1, v48
	;; [unrolled: 1-line block ×4, first 2 shown]
	v_add_f16_e32 v46, v37, v39
	v_sub_f16_e32 v50, v16, v14
	v_add_f16_e32 v43, v43, v18
	v_fma_f16 v48, v47, s6, v48
	v_fma_f16 v44, v47, s6, v44
	v_sub_f16_e32 v47, v18, v20
	v_fma_f16 v46, v46, -0.5, v33
	v_sub_f16_e32 v14, v14, v20
	v_add_f16_e32 v43, v43, v20
	v_fma_f16 v49, v45, s1, v49
	v_add_f16_e32 v47, v50, v47
	v_fma_f16 v12, v45, s14, v12
	v_fma_f16 v20, v14, s7, v46
	v_sub_f16_e32 v16, v16, v18
	v_fma_f16 v49, v47, s6, v49
	v_fma_f16 v12, v47, s6, v12
	;; [unrolled: 1-line block ×3, first 2 shown]
	v_sub_f16_e32 v20, v35, v37
	v_sub_f16_e32 v47, v41, v39
	v_fma_f16 v46, v14, s0, v46
	v_add_f16_e32 v20, v20, v47
	v_fma_f16 v46, v16, s1, v46
	v_fma_f16 v18, v20, s6, v18
	;; [unrolled: 1-line block ×3, first 2 shown]
	v_add_f16_e32 v46, v35, v41
	v_mul_f16_sdwa v51, v38, v4 dst_sel:DWORD dst_unused:UNUSED_PAD src0_sel:DWORD src1_sel:WORD_1
	v_mul_f16_sdwa v55, v40, v6 dst_sel:DWORD dst_unused:UNUSED_PAD src0_sel:DWORD src1_sel:WORD_1
	v_add_f16_e32 v45, v33, v35
	v_fma_f16 v33, v46, -0.5, v33
	v_mul_f16_sdwa v52, v17, v4 dst_sel:DWORD dst_unused:UNUSED_PAD src0_sel:DWORD src1_sel:WORD_1
	v_mul_f16_sdwa v56, v19, v6 dst_sel:DWORD dst_unused:UNUSED_PAD src0_sel:DWORD src1_sel:WORD_1
	s_waitcnt vmcnt(0)
	v_mul_f16_sdwa v60, v21, v31 dst_sel:DWORD dst_unused:UNUSED_PAD src0_sel:DWORD src1_sel:WORD_1
	v_fma_f16 v17, v17, v4, -v51
	v_fma_f16 v19, v19, v6, -v55
	v_add_f16_e32 v45, v45, v37
	v_fma_f16 v46, v16, s0, v33
	v_sub_f16_e32 v35, v37, v35
	v_sub_f16_e32 v37, v39, v41
	v_fma_f16 v16, v16, s7, v33
	v_mul_f16_sdwa v59, v42, v31 dst_sel:DWORD dst_unused:UNUSED_PAD src0_sel:DWORD src1_sel:WORD_1
	v_fma_f16 v42, v42, v31, v60
	v_fma_f16 v46, v14, s14, v46
	v_add_f16_e32 v35, v35, v37
	v_fma_f16 v14, v14, s1, v16
	v_add_f16_e32 v33, v17, v19
	v_fma_f16 v38, v38, v4, v52
	v_fma_f16 v40, v40, v6, v56
	v_fma_f16 v21, v21, v31, -v59
	v_add_f16_e32 v45, v45, v39
	v_fma_f16 v37, v35, s6, v46
	v_fma_f16 v14, v35, s6, v14
	v_fma_f16 v33, v33, -0.5, v13
	v_sub_f16_e32 v35, v36, v42
	v_add_f16_e32 v45, v45, v41
	v_fma_f16 v39, v35, s0, v33
	v_sub_f16_e32 v41, v38, v40
	v_sub_f16_e32 v46, v15, v17
	;; [unrolled: 1-line block ×3, first 2 shown]
	v_fma_f16 v33, v35, s7, v33
	v_fma_f16 v39, v41, s1, v39
	v_add_f16_e32 v46, v46, v47
	v_fma_f16 v33, v41, s14, v33
	v_fma_f16 v39, v46, s6, v39
	v_fma_f16 v33, v46, s6, v33
	v_add_f16_e32 v46, v15, v21
	v_add_f16_e32 v16, v13, v15
	v_fma_f16 v13, v46, -0.5, v13
	v_add_f16_e32 v16, v16, v17
	v_fma_f16 v46, v41, s7, v13
	v_fma_f16 v13, v41, s0, v13
	v_add_f16_e32 v41, v38, v40
	v_add_f16_e32 v16, v16, v19
	v_sub_f16_e32 v47, v17, v15
	v_sub_f16_e32 v50, v19, v21
	v_fma_f16 v41, v41, -0.5, v34
	v_sub_f16_e32 v15, v15, v21
	v_add_f16_e32 v16, v16, v21
	v_fma_f16 v46, v35, s1, v46
	v_add_f16_e32 v47, v47, v50
	v_fma_f16 v13, v35, s14, v13
	v_fma_f16 v21, v15, s7, v41
	v_sub_f16_e32 v17, v17, v19
	v_fma_f16 v46, v47, s6, v46
	v_fma_f16 v13, v47, s6, v13
	;; [unrolled: 1-line block ×3, first 2 shown]
	v_sub_f16_e32 v21, v36, v38
	v_sub_f16_e32 v47, v42, v40
	v_fma_f16 v41, v15, s0, v41
	v_add_f16_e32 v21, v21, v47
	v_fma_f16 v41, v17, s1, v41
	v_fma_f16 v19, v21, s6, v19
	;; [unrolled: 1-line block ×3, first 2 shown]
	v_add_f16_e32 v41, v36, v42
	v_add_f16_e32 v35, v34, v36
	v_fma_f16 v34, v41, -0.5, v34
	v_add_f16_e32 v35, v35, v38
	v_fma_f16 v41, v17, s0, v34
	v_sub_f16_e32 v36, v38, v36
	v_sub_f16_e32 v38, v40, v42
	v_fma_f16 v17, v17, s7, v34
	v_add_f16_e32 v35, v35, v40
	v_fma_f16 v41, v15, s14, v41
	v_add_f16_e32 v36, v36, v38
	;; [unrolled: 2-line block ×3, first 2 shown]
	v_fma_f16 v15, v36, s6, v15
	v_mul_f16_e32 v42, 0x34f2, v13
	v_mul_f16_e32 v50, 0x3a79, v33
	v_fma_f16 v42, v15, s0, -v42
	v_fma_f16 v50, v21, s1, -v50
	v_mul_f16_e32 v15, 0x34f2, v15
	v_mul_f16_e32 v21, 0x3a79, v21
	v_fma_f16 v38, v36, s6, v41
	v_mul_f16_e32 v34, 0x38b4, v19
	v_fma_f16 v13, v13, s7, -v15
	v_fma_f16 v21, v33, s14, -v21
	v_fma_f16 v34, v39, s15, v34
	v_mul_f16_e32 v40, 0x3b9c, v38
	v_mul_f16_e32 v39, 0xb8b4, v39
	v_add_f16_e32 v15, v14, v13
	v_add_f16_e32 v33, v20, v21
	v_sub_f16_e32 v13, v14, v13
	v_sub_f16_e32 v14, v20, v21
	v_mov_b32_e32 v20, 0x82
	v_cmp_lt_u16_e64 s[0:1], 12, v9
	v_fma_f16 v40, v46, s6, v40
	v_fma_f16 v19, v19, s15, v39
	v_mul_f16_e32 v46, 0xbb9c, v46
	v_cndmask_b32_e64 v20, 0, v20, s[0:1]
	v_add_f16_e32 v17, v43, v16
	v_add_f16_e32 v36, v48, v34
	;; [unrolled: 1-line block ×4, first 2 shown]
	v_fma_f16 v38, v38, s6, v46
	v_add_u32_e32 v20, v32, v20
	v_add_f16_e32 v41, v49, v40
	v_add_f16_e32 v47, v12, v42
	;; [unrolled: 1-line block ×3, first 2 shown]
	v_add_lshl_u32 v32, v23, v20, 2
	v_pack_b32_f16 v17, v17, v52
	v_pack_b32_f16 v20, v36, v39
	v_add_f16_e32 v51, v44, v50
	v_sub_f16_e32 v16, v43, v16
	v_sub_f16_e32 v35, v45, v35
	ds_write2_b32 v32, v17, v20 offset1:13
	v_pack_b32_f16 v17, v41, v46
	v_pack_b32_f16 v15, v47, v15
	v_sub_f16_e32 v34, v48, v34
	v_sub_f16_e32 v40, v49, v40
	;; [unrolled: 1-line block ×6, first 2 shown]
	ds_write2_b32 v32, v17, v15 offset0:26 offset1:39
	v_pack_b32_f16 v15, v51, v33
	v_pack_b32_f16 v16, v16, v35
	ds_write2_b32 v32, v15, v16 offset0:52 offset1:65
	v_pack_b32_f16 v15, v34, v18
	v_pack_b32_f16 v16, v40, v19
	;; [unrolled: 1-line block ×4, first 2 shown]
	ds_write2_b32 v32, v15, v16 offset0:78 offset1:91
	ds_write2_b32 v32, v12, v13 offset0:104 offset1:117
	s_waitcnt lgkmcnt(0)
	; wave barrier
	s_waitcnt lgkmcnt(0)
	global_load_dword v34, v22, s[4:5] offset:468
	global_load_dword v35, v22, s[4:5] offset:572
	;; [unrolled: 1-line block ×5, first 2 shown]
	ds_read2_b32 v[16:17], v30 offset1:26
	ds_read2_b32 v[20:21], v30 offset0:104 offset1:130
	ds_read2_b32 v[12:13], v30 offset0:156 offset1:182
	;; [unrolled: 1-line block ×4, first 2 shown]
	s_waitcnt lgkmcnt(4)
	v_lshrrev_b32_e32 v18, 16, v16
	s_waitcnt lgkmcnt(3)
	v_lshrrev_b32_e32 v19, 16, v21
	;; [unrolled: 2-line block ×3, first 2 shown]
	v_lshrrev_b32_e32 v41, 16, v13
	s_waitcnt lgkmcnt(0)
	v_lshrrev_b32_e32 v42, 16, v14
	v_lshrrev_b32_e32 v43, 16, v15
	;; [unrolled: 1-line block ×6, first 2 shown]
	s_waitcnt vmcnt(4)
	v_mul_f16_sdwa v44, v19, v34 dst_sel:DWORD dst_unused:UNUSED_PAD src0_sel:DWORD src1_sel:WORD_1
	v_fma_f16 v44, v21, v34, -v44
	v_mul_f16_sdwa v21, v21, v34 dst_sel:DWORD dst_unused:UNUSED_PAD src0_sel:DWORD src1_sel:WORD_1
	v_fma_f16 v19, v19, v34, v21
	s_waitcnt vmcnt(3)
	v_mul_f16_sdwa v21, v39, v35 dst_sel:DWORD dst_unused:UNUSED_PAD src0_sel:DWORD src1_sel:WORD_1
	v_fma_f16 v21, v12, v35, -v21
	v_mul_f16_sdwa v12, v12, v35 dst_sel:DWORD dst_unused:UNUSED_PAD src0_sel:DWORD src1_sel:WORD_1
	v_fma_f16 v45, v39, v35, v12
	;; [unrolled: 5-line block ×5, first 2 shown]
	v_sub_f16_e32 v13, v16, v44
	v_sub_f16_e32 v41, v18, v19
	;; [unrolled: 1-line block ×4, first 2 shown]
	v_fma_f16 v12, v16, 2.0, -v13
	v_fma_f16 v39, v18, 2.0, -v41
	;; [unrolled: 1-line block ×4, first 2 shown]
	v_sub_f16_e32 v44, v40, v51
	v_sub_f16_e32 v17, v48, v47
	v_fma_f16 v45, v40, 2.0, -v44
	v_sub_f16_e32 v19, v49, v52
	v_sub_f16_e32 v47, v46, v53
	v_lshl_add_u32 v33, v9, 2, v24
	v_pack_b32_f16 v40, v12, v39
	v_pack_b32_f16 v51, v14, v42
	v_fma_f16 v16, v48, 2.0, -v17
	v_fma_f16 v18, v49, 2.0, -v19
	;; [unrolled: 1-line block ×3, first 2 shown]
	v_sub_f16_e32 v21, v20, v54
	v_sub_f16_e32 v48, v50, v55
	ds_write2_b32 v33, v40, v51 offset1:26
	v_pack_b32_f16 v40, v15, v43
	v_pack_b32_f16 v52, v17, v44
	v_fma_f16 v20, v20, 2.0, -v21
	v_fma_f16 v49, v50, 2.0, -v48
	v_pack_b32_f16 v51, v16, v45
	ds_write2_b32 v33, v40, v52 offset0:156 offset1:182
	v_pack_b32_f16 v40, v18, v46
	v_pack_b32_f16 v50, v13, v41
	ds_write2_b32 v33, v51, v40 offset0:52 offset1:78
	v_pack_b32_f16 v40, v19, v47
	v_pack_b32_f16 v51, v20, v49
	ds_write_b32 v33, v40 offset:832
	v_add_u32_e32 v40, v22, v24
	ds_write2_b32 v33, v51, v50 offset0:104 offset1:130
	v_pack_b32_f16 v50, v21, v48
	ds_write_b32 v40, v50 offset:936
	s_waitcnt lgkmcnt(0)
	; wave barrier
	s_waitcnt lgkmcnt(0)
	s_and_saveexec_b64 s[0:1], vcc
	s_cbranch_execz .LBB0_9
; %bb.8:
	global_load_dword v62, v22, s[12:13] offset:1040
	s_add_u32 s4, s12, 0x410
	s_addc_u32 s5, s13, 0
	global_load_dword v63, v22, s[4:5] offset:80
	global_load_dword v64, v22, s[4:5] offset:160
	;; [unrolled: 1-line block ×11, first 2 shown]
	ds_read2_b32 v[50:51], v33 offset1:20
	ds_read2_b32 v[52:53], v33 offset0:40 offset1:60
	ds_read2_b32 v[54:55], v33 offset0:80 offset1:100
	ds_read2_b32 v[56:57], v33 offset0:120 offset1:140
	ds_read2_b32 v[58:59], v33 offset0:160 offset1:180
	ds_read2_b32 v[60:61], v33 offset0:200 offset1:220
	global_load_dword v74, v22, s[4:5] offset:960
	s_waitcnt lgkmcnt(5)
	v_lshrrev_b32_e32 v75, 16, v50
	v_lshrrev_b32_e32 v76, 16, v51
	s_waitcnt lgkmcnt(4)
	v_lshrrev_b32_e32 v77, 16, v52
	v_lshrrev_b32_e32 v78, 16, v53
	;; [unrolled: 3-line block ×5, first 2 shown]
	s_waitcnt vmcnt(9)
	v_mul_f16_sdwa v87, v78, v65 dst_sel:DWORD dst_unused:UNUSED_PAD src0_sel:DWORD src1_sel:WORD_1
	v_mul_f16_sdwa v88, v53, v65 dst_sel:DWORD dst_unused:UNUSED_PAD src0_sel:DWORD src1_sel:WORD_1
	s_waitcnt vmcnt(8)
	v_mul_f16_sdwa v89, v79, v66 dst_sel:DWORD dst_unused:UNUSED_PAD src0_sel:DWORD src1_sel:WORD_1
	v_mul_f16_sdwa v90, v54, v66 dst_sel:DWORD dst_unused:UNUSED_PAD src0_sel:DWORD src1_sel:WORD_1
	s_waitcnt vmcnt(7)
	v_mul_f16_sdwa v91, v80, v67 dst_sel:DWORD dst_unused:UNUSED_PAD src0_sel:DWORD src1_sel:WORD_1
	v_mul_f16_sdwa v85, v75, v62 dst_sel:DWORD dst_unused:UNUSED_PAD src0_sel:DWORD src1_sel:WORD_1
	v_mul_f16_sdwa v86, v50, v62 dst_sel:DWORD dst_unused:UNUSED_PAD src0_sel:DWORD src1_sel:WORD_1
	v_fma_f16 v50, v50, v62, -v85
	v_fma_f16 v62, v75, v62, v86
	v_pack_b32_f16 v50, v50, v62
	v_mul_f16_sdwa v62, v76, v63 dst_sel:DWORD dst_unused:UNUSED_PAD src0_sel:DWORD src1_sel:WORD_1
	v_mul_f16_sdwa v75, v51, v63 dst_sel:DWORD dst_unused:UNUSED_PAD src0_sel:DWORD src1_sel:WORD_1
	;; [unrolled: 1-line block ×5, first 2 shown]
	s_waitcnt vmcnt(6)
	v_mul_f16_sdwa v93, v81, v68 dst_sel:DWORD dst_unused:UNUSED_PAD src0_sel:DWORD src1_sel:WORD_1
	v_mul_f16_sdwa v94, v56, v68 dst_sel:DWORD dst_unused:UNUSED_PAD src0_sel:DWORD src1_sel:WORD_1
	s_waitcnt vmcnt(5)
	v_mul_f16_sdwa v95, v82, v69 dst_sel:DWORD dst_unused:UNUSED_PAD src0_sel:DWORD src1_sel:WORD_1
	v_mul_f16_sdwa v96, v57, v69 dst_sel:DWORD dst_unused:UNUSED_PAD src0_sel:DWORD src1_sel:WORD_1
	;; [unrolled: 3-line block ×4, first 2 shown]
	v_fma_f16 v51, v51, v63, -v62
	v_fma_f16 v62, v76, v63, v75
	v_fma_f16 v52, v52, v64, -v85
	v_fma_f16 v63, v77, v64, v86
	v_fma_f16 v53, v53, v65, -v87
	v_fma_f16 v64, v78, v65, v88
	v_fma_f16 v54, v54, v66, -v89
	v_fma_f16 v65, v79, v66, v90
	v_fma_f16 v55, v55, v67, -v91
	v_fma_f16 v66, v80, v67, v92
	v_fma_f16 v56, v56, v68, -v93
	v_fma_f16 v67, v81, v68, v94
	v_fma_f16 v57, v57, v69, -v95
	v_fma_f16 v68, v82, v69, v96
	v_fma_f16 v58, v58, v70, -v97
	v_fma_f16 v69, v83, v70, v98
	v_fma_f16 v59, v59, v71, -v99
	v_fma_f16 v70, v84, v71, v100
	v_pack_b32_f16 v51, v51, v62
	v_pack_b32_f16 v52, v52, v63
	;; [unrolled: 1-line block ×9, first 2 shown]
	ds_write2_b32 v33, v50, v51 offset1:20
	ds_write2_b32 v33, v52, v53 offset0:40 offset1:60
	ds_write2_b32 v33, v54, v55 offset0:80 offset1:100
	;; [unrolled: 1-line block ×4, first 2 shown]
	s_waitcnt lgkmcnt(5)
	v_lshrrev_b32_e32 v50, 16, v60
	s_waitcnt vmcnt(2)
	v_mul_f16_sdwa v51, v50, v72 dst_sel:DWORD dst_unused:UNUSED_PAD src0_sel:DWORD src1_sel:WORD_1
	v_mul_f16_sdwa v52, v60, v72 dst_sel:DWORD dst_unused:UNUSED_PAD src0_sel:DWORD src1_sel:WORD_1
	v_fma_f16 v51, v60, v72, -v51
	v_fma_f16 v50, v50, v72, v52
	ds_read_b32 v53, v33 offset:960
	v_pack_b32_f16 v50, v51, v50
	v_lshrrev_b32_e32 v51, 16, v61
	s_waitcnt vmcnt(1)
	v_mul_f16_sdwa v52, v51, v73 dst_sel:DWORD dst_unused:UNUSED_PAD src0_sel:DWORD src1_sel:WORD_1
	v_mul_f16_sdwa v54, v61, v73 dst_sel:DWORD dst_unused:UNUSED_PAD src0_sel:DWORD src1_sel:WORD_1
	v_fma_f16 v52, v61, v73, -v52
	v_fma_f16 v51, v51, v73, v54
	v_pack_b32_f16 v51, v52, v51
	ds_write2_b32 v33, v50, v51 offset0:200 offset1:220
	s_waitcnt lgkmcnt(1)
	v_lshrrev_b32_e32 v50, 16, v53
	s_waitcnt vmcnt(0)
	v_mul_f16_sdwa v51, v50, v74 dst_sel:DWORD dst_unused:UNUSED_PAD src0_sel:DWORD src1_sel:WORD_1
	v_mul_f16_sdwa v52, v53, v74 dst_sel:DWORD dst_unused:UNUSED_PAD src0_sel:DWORD src1_sel:WORD_1
	v_fma_f16 v51, v53, v74, -v51
	v_fma_f16 v50, v50, v74, v52
	v_pack_b32_f16 v50, v51, v50
	ds_write_b32 v33, v50 offset:960
.LBB0_9:
	s_or_b64 exec, exec, s[0:1]
	s_waitcnt lgkmcnt(0)
	; wave barrier
	s_waitcnt lgkmcnt(0)
	s_and_saveexec_b64 s[0:1], vcc
	s_cbranch_execz .LBB0_11
; %bb.10:
	ds_read2_b32 v[12:13], v33 offset1:20
	ds_read2_b32 v[14:15], v33 offset0:40 offset1:60
	ds_read2_b32 v[16:17], v33 offset0:80 offset1:100
	;; [unrolled: 1-line block ×5, first 2 shown]
	ds_read_b32 v27, v33 offset:960
	s_waitcnt lgkmcnt(6)
	v_lshrrev_b32_e32 v39, 16, v12
	v_lshrrev_b32_e32 v41, 16, v13
	s_waitcnt lgkmcnt(5)
	v_lshrrev_b32_e32 v42, 16, v14
	v_lshrrev_b32_e32 v43, 16, v15
	;; [unrolled: 3-line block ×6, first 2 shown]
	s_waitcnt lgkmcnt(0)
	v_lshrrev_b32_e32 v26, 16, v27
.LBB0_11:
	s_or_b64 exec, exec, s[0:1]
	v_add_u32_e32 v40, 0x1a0, v40
	s_waitcnt lgkmcnt(0)
	; wave barrier
	s_and_saveexec_b64 s[0:1], vcc
	s_cbranch_execz .LBB0_13
; %bb.12:
	v_sub_f16_e32 v50, v13, v27
	v_mul_f16_e32 v51, 0xbb7b, v50
	v_add_f16_e32 v52, v26, v41
	s_mov_b32 s4, 0xb5ac
	v_sub_f16_e32 v54, v14, v11
	v_fma_f16 v53, v52, s4, v51
	v_mul_f16_e32 v55, 0x394e, v54
	v_add_f16_e32 v56, v28, v42
	s_mov_b32 s5, 0xb9fd
	v_add_f16_e32 v53, v39, v53
	v_fma_f16 v57, v56, s5, v55
	v_add_f16_e32 v53, v57, v53
	v_sub_f16_e32 v57, v15, v10
	v_mul_f16_e32 v58, 0x3770, v57
	v_add_f16_e32 v59, v29, v43
	s_movk_i32 s7, 0x3b15
	v_fma_f16 v60, v59, s7, v58
	v_add_f16_e32 v53, v60, v53
	v_sub_f16_e32 v60, v16, v21
	v_mul_f16_e32 v61, 0xbbf1, v60
	v_add_f16_e32 v62, v48, v45
	s_movk_i32 s14, 0x2fb7
	v_fma_f16 v63, v62, s14, v61
	v_add_f16_e32 v53, v63, v53
	v_sub_f16_e32 v63, v17, v20
	v_mul_f16_e32 v64, 0x33a8, v63
	v_add_f16_e32 v65, v49, v44
	s_mov_b32 s15, 0xbbc4
	v_fma_f16 v66, v65, s15, v64
	v_add_f16_e32 v53, v66, v53
	v_sub_f16_e32 v66, v18, v19
	v_mul_f16_e32 v67, 0x3a95, v66
	v_add_f16_e32 v68, v47, v46
	s_movk_i32 s17, 0x388b
	v_fma_f16 v69, v68, s17, v67
	v_sub_f16_e32 v70, v41, v26
	v_add_f16_e32 v53, v69, v53
	v_add_f16_e32 v69, v27, v13
	v_mul_f16_e32 v71, 0xbb7b, v70
	v_sub_f16_e32 v74, v42, v28
	v_fma_f16 v72, v69, s4, -v71
	v_add_f16_e32 v73, v11, v14
	v_mul_f16_e32 v75, 0x394e, v74
	v_add_f16_e32 v72, v12, v72
	v_fma_f16 v76, v73, s5, -v75
	v_sub_f16_e32 v77, v43, v29
	v_add_f16_e32 v72, v76, v72
	v_add_f16_e32 v76, v10, v15
	v_mul_f16_e32 v78, 0x3770, v77
	v_fma_f16 v79, v76, s7, -v78
	v_sub_f16_e32 v80, v45, v48
	v_add_f16_e32 v72, v79, v72
	v_add_f16_e32 v79, v21, v16
	v_mul_f16_e32 v81, 0xbbf1, v80
	;; [unrolled: 5-line block ×4, first 2 shown]
	v_fma_f16 v88, v85, s17, -v87
	v_add_f16_e32 v72, v88, v72
	v_mul_f16_e32 v88, 0xb94e, v50
	v_fma_f16 v89, v52, s5, v88
	v_mul_f16_e32 v90, 0x3bf1, v54
	v_add_f16_e32 v89, v39, v89
	v_fma_f16 v91, v56, s14, v90
	v_fma_f16 v51, v52, s4, -v51
	v_add_f16_e32 v89, v91, v89
	v_mul_f16_e32 v91, 0xba95, v57
	v_add_f16_e32 v51, v39, v51
	v_fma_f16 v55, v56, s5, -v55
	v_fma_f16 v92, v59, s17, v91
	v_add_f16_e32 v51, v55, v51
	v_fma_f16 v55, v59, s7, -v58
	v_add_f16_e32 v89, v92, v89
	v_mul_f16_e32 v92, 0x33a8, v60
	v_add_f16_e32 v51, v55, v51
	v_fma_f16 v55, v62, s14, -v61
	v_fma_f16 v93, v62, s15, v92
	v_add_f16_e32 v51, v55, v51
	;; [unrolled: 7-line block ×3, first 2 shown]
	v_fma_f16 v55, v69, s4, v71
	v_add_f16_e32 v89, v94, v89
	v_mul_f16_e32 v94, 0xbb7b, v66
	v_add_f16_e32 v55, v12, v55
	v_fma_f16 v58, v73, s5, v75
	v_fma_f16 v95, v68, s4, v94
	v_add_f16_e32 v55, v58, v55
	v_fma_f16 v58, v76, s7, v78
	v_add_f16_e32 v89, v95, v89
	v_mul_f16_e32 v95, 0xb94e, v70
	v_add_f16_e32 v55, v58, v55
	v_fma_f16 v58, v79, s14, v81
	v_fma_f16 v96, v69, s5, -v95
	v_mul_f16_e32 v97, 0x3bf1, v74
	v_add_f16_e32 v55, v58, v55
	v_fma_f16 v58, v82, s15, v84
	v_add_f16_e32 v96, v12, v96
	v_fma_f16 v98, v73, s14, -v97
	v_add_f16_e32 v55, v58, v55
	v_fma_f16 v58, v85, s17, v87
	s_movk_i32 s22, 0x3bf1
	v_add_f16_e32 v96, v98, v96
	v_mul_f16_e32 v98, 0xba95, v77
	v_add_f16_e32 v55, v58, v55
	v_mul_f16_e32 v58, 0x2fb7, v52
	s_movk_i32 s24, 0x33a8
	v_fma_f16 v99, v76, s17, -v98
	v_fma_f16 v88, v52, s5, -v88
	v_fma_f16 v61, v50, s22, v58
	v_mul_f16_e32 v64, 0xbbc4, v56
	v_add_f16_e32 v96, v99, v96
	v_mul_f16_e32 v99, 0x33a8, v80
	v_add_f16_e32 v88, v39, v88
	v_fma_f16 v90, v56, s14, -v90
	v_add_f16_e32 v61, v39, v61
	v_fma_f16 v67, v54, s24, v64
	s_mov_b32 s6, 0xbb7b
	v_fma_f16 v100, v79, s15, -v99
	v_add_f16_e32 v88, v90, v88
	v_fma_f16 v90, v59, s17, -v91
	v_add_f16_e32 v61, v67, v61
	v_mul_f16_e32 v67, 0xb5ac, v59
	v_add_f16_e32 v96, v100, v96
	v_mul_f16_e32 v100, 0x3770, v83
	v_add_f16_e32 v88, v90, v88
	v_fma_f16 v90, v62, s15, -v92
	v_fma_f16 v71, v57, s6, v67
	v_fma_f16 v101, v82, s7, -v100
	v_add_f16_e32 v88, v90, v88
	v_fma_f16 v90, v65, s7, -v93
	v_add_f16_e32 v61, v71, v61
	v_mul_f16_e32 v71, 0x3b15, v62
	s_mov_b32 s26, 0xb770
	v_add_f16_e32 v96, v101, v96
	v_mul_f16_e32 v101, 0xbb7b, v86
	v_add_f16_e32 v88, v90, v88
	v_fma_f16 v90, v68, s4, -v94
	v_fma_f16 v75, v60, s26, v71
	s_movk_i32 s25, 0x3a95
	v_fma_f16 v102, v85, s4, -v101
	v_add_f16_e32 v88, v90, v88
	v_fma_f16 v90, v69, s5, v95
	v_add_f16_e32 v61, v75, v61
	v_mul_f16_e32 v75, 0x388b, v65
	v_add_f16_e32 v96, v102, v96
	v_mul_f16_e32 v102, 0xb3a8, v50
	v_add_f16_e32 v90, v12, v90
	v_fma_f16 v91, v73, s14, v97
	v_fma_f16 v78, v63, s25, v75
	;; [unrolled: 1-line block ×3, first 2 shown]
	v_mul_f16_e32 v104, 0x3770, v54
	v_add_f16_e32 v90, v91, v90
	v_fma_f16 v91, v76, s17, v98
	v_add_f16_e32 v61, v78, v61
	v_mul_f16_e32 v78, 0xb9fd, v68
	v_add_f16_e32 v103, v39, v103
	v_fma_f16 v105, v56, s7, v104
	v_add_f16_e32 v90, v91, v90
	v_fma_f16 v91, v79, s15, v99
	v_fma_f16 v81, v66, s18, v78
	v_add_f16_e32 v103, v105, v103
	v_mul_f16_e32 v105, 0xb94e, v57
	v_add_f16_e32 v90, v91, v90
	v_fma_f16 v91, v82, s7, v100
	v_add_f16_e32 v61, v81, v61
	v_mul_f16_e32 v81, 0xbbf1, v70
	v_fma_f16 v106, v59, s5, v105
	v_add_f16_e32 v90, v91, v90
	v_fma_f16 v91, v85, s4, v101
	v_fma_f16 v84, v69, s14, v81
	v_mul_f16_e32 v87, 0xb3a8, v74
	v_add_f16_e32 v13, v13, v12
	v_add_f16_e32 v103, v106, v103
	v_mul_f16_e32 v106, 0x3a95, v60
	v_add_f16_e32 v90, v91, v90
	v_add_f16_e32 v84, v12, v84
	v_fma_f16 v91, v73, s15, v87
	v_add_f16_e32 v13, v14, v13
	v_fma_f16 v107, v62, s17, v106
	v_add_f16_e32 v84, v91, v84
	v_mul_f16_e32 v91, 0x3b7b, v77
	v_add_f16_e32 v13, v15, v13
	v_add_f16_e32 v103, v107, v103
	v_mul_f16_e32 v107, 0xbb7b, v63
	v_fma_f16 v92, v76, s4, v91
	v_add_f16_e32 v13, v16, v13
	v_fma_f16 v108, v65, s4, v107
	v_add_f16_e32 v84, v92, v84
	v_mul_f16_e32 v92, 0x3770, v80
	v_add_f16_e32 v13, v17, v13
	v_add_f16_e32 v103, v108, v103
	v_mul_f16_e32 v108, 0x3bf1, v66
	v_fma_f16 v93, v79, s7, v92
	v_add_f16_e32 v13, v18, v13
	v_fma_f16 v109, v68, s14, v108
	v_fma_f16 v102, v52, s15, -v102
	v_add_f16_e32 v84, v93, v84
	v_mul_f16_e32 v93, 0xba95, v83
	v_add_f16_e32 v13, v19, v13
	v_add_f16_e32 v103, v109, v103
	v_mul_f16_e32 v109, 0xb3a8, v70
	v_add_f16_e32 v102, v39, v102
	v_fma_f16 v104, v56, s7, -v104
	v_fma_f16 v94, v82, s17, v93
	v_add_f16_e32 v13, v20, v13
	v_fma_f16 v110, v69, s15, -v109
	v_mul_f16_e32 v111, 0x3770, v74
	v_add_f16_e32 v102, v104, v102
	v_fma_f16 v104, v59, s5, -v105
	v_add_f16_e32 v84, v94, v84
	v_mul_f16_e32 v94, 0xb94e, v86
	v_add_f16_e32 v13, v21, v13
	v_add_f16_e32 v110, v12, v110
	v_fma_f16 v112, v73, s7, -v111
	v_add_f16_e32 v102, v104, v102
	v_fma_f16 v104, v62, s17, -v106
	v_fma_f16 v95, v85, s5, v94
	v_add_f16_e32 v10, v10, v13
	v_fma_f16 v13, v50, s16, v58
	v_add_f16_e32 v110, v112, v110
	v_mul_f16_e32 v112, 0xb94e, v77
	v_add_f16_e32 v102, v104, v102
	v_fma_f16 v104, v65, s4, -v107
	s_movk_i32 s27, 0x3b7b
	v_add_f16_e32 v84, v95, v84
	v_mul_f16_e32 v95, 0x388b, v52
	v_add_f16_e32 v13, v39, v13
	v_fma_f16 v14, v54, s23, v64
	s_movk_i32 s19, 0x3770
	v_fma_f16 v113, v76, s5, -v112
	v_add_f16_e32 v102, v104, v102
	v_fma_f16 v104, v68, s14, -v108
	v_fma_f16 v97, v50, s25, v95
	v_mul_f16_e32 v98, 0xb5ac, v56
	v_add_f16_e32 v13, v14, v13
	v_fma_f16 v14, v57, s27, v67
	s_mov_b32 s21, 0xba95
	v_add_f16_e32 v110, v113, v110
	v_mul_f16_e32 v113, 0x3a95, v80
	v_add_f16_e32 v102, v104, v102
	v_fma_f16 v104, v69, s15, v109
	v_add_f16_e32 v97, v39, v97
	v_fma_f16 v99, v54, s27, v98
	v_add_f16_e32 v13, v14, v13
	v_fma_f16 v14, v60, s19, v71
	s_mov_b32 s20, 0xb94e
	v_fma_f16 v114, v79, s17, -v113
	v_add_f16_e32 v104, v12, v104
	v_fma_f16 v105, v73, s7, v111
	v_add_f16_e32 v97, v99, v97
	v_mul_f16_e32 v99, 0xbbc4, v59
	v_add_f16_e32 v13, v14, v13
	v_fma_f16 v14, v63, s21, v75
	v_add_f16_e32 v110, v114, v110
	v_mul_f16_e32 v114, 0xbb7b, v83
	v_add_f16_e32 v104, v105, v104
	v_fma_f16 v105, v76, s5, v112
	v_fma_f16 v100, v57, s24, v99
	v_add_f16_e32 v13, v14, v13
	v_fma_f16 v14, v66, s20, v78
	v_fma_f16 v115, v82, s4, -v114
	v_add_f16_e32 v104, v105, v104
	v_fma_f16 v105, v79, s17, v113
	v_add_f16_e32 v97, v100, v97
	v_mul_f16_e32 v100, 0xb9fd, v62
	v_add_f16_e32 v13, v14, v13
	v_fma_f16 v14, v69, s14, -v81
	v_add_f16_e32 v110, v115, v110
	v_mul_f16_e32 v115, 0x3bf1, v86
	v_add_f16_e32 v104, v105, v104
	v_fma_f16 v105, v82, s4, v114
	v_fma_f16 v101, v60, s20, v100
	v_add_f16_e32 v14, v12, v14
	v_fma_f16 v15, v73, s15, -v87
	v_add_f16_e32 v104, v105, v104
	v_fma_f16 v105, v85, s14, v115
	v_add_f16_e32 v97, v101, v97
	v_mul_f16_e32 v101, 0x2fb7, v65
	v_add_f16_e32 v14, v15, v14
	v_fma_f16 v15, v76, s4, -v91
	v_add_f16_e32 v104, v105, v104
	v_fma_f16 v105, v63, s16, v101
	v_add_f16_e32 v14, v15, v14
	v_fma_f16 v15, v79, s7, -v92
	v_add_f16_e32 v97, v105, v97
	v_mul_f16_e32 v105, 0x3b15, v68
	v_add_f16_e32 v14, v15, v14
	v_fma_f16 v15, v82, s17, -v93
	v_fma_f16 v106, v66, s26, v105
	v_add_f16_e32 v14, v15, v14
	v_fma_f16 v15, v85, s5, -v94
	v_add_f16_e32 v97, v106, v97
	v_mul_f16_e32 v106, 0xba95, v70
	v_add_f16_e32 v14, v15, v14
	v_fma_f16 v15, v50, s21, v95
	v_fma_f16 v107, v69, s17, v106
	v_mul_f16_e32 v108, 0xbb7b, v74
	v_add_f16_e32 v15, v39, v15
	v_fma_f16 v16, v54, s6, v98
	v_add_f16_e32 v107, v12, v107
	v_fma_f16 v109, v73, s4, v108
	;; [unrolled: 2-line block ×3, first 2 shown]
	v_add_f16_e32 v107, v109, v107
	v_mul_f16_e32 v109, 0xb3a8, v77
	v_add_f16_e32 v15, v16, v15
	v_fma_f16 v16, v60, s18, v100
	v_fma_f16 v111, v76, s15, v109
	v_add_f16_e32 v15, v16, v15
	v_fma_f16 v16, v63, s22, v101
	v_add_f16_e32 v107, v111, v107
	v_mul_f16_e32 v111, 0x394e, v80
	v_add_f16_e32 v15, v16, v15
	v_fma_f16 v16, v66, s19, v105
	v_fma_f16 v112, v79, s5, v111
	v_add_f16_e32 v15, v16, v15
	v_fma_f16 v16, v69, s17, -v106
	v_add_f16_e32 v107, v112, v107
	v_mul_f16_e32 v112, 0x3bf1, v83
	v_add_f16_e32 v16, v12, v16
	v_fma_f16 v17, v73, s4, -v108
	v_fma_f16 v113, v82, s14, v112
	v_add_f16_e32 v16, v17, v16
	v_fma_f16 v17, v76, s15, -v109
	v_add_f16_e32 v107, v113, v107
	v_mul_f16_e32 v113, 0x3770, v86
	v_add_f16_e32 v16, v17, v16
	v_fma_f16 v17, v79, s5, -v111
	v_fma_f16 v114, v85, s7, v113
	v_mul_f16_e32 v52, 0x3b15, v52
	v_add_f16_e32 v16, v17, v16
	v_fma_f16 v17, v82, s14, -v112
	v_add_f16_e32 v107, v114, v107
	v_fma_f16 v114, v50, s19, v52
	v_mul_f16_e32 v56, 0x388b, v56
	v_add_f16_e32 v16, v17, v16
	v_fma_f16 v17, v85, s7, -v113
	v_fma_f16 v116, v85, s14, -v115
	v_add_f16_e32 v114, v39, v114
	v_fma_f16 v115, v54, s25, v56
	v_mul_f16_e32 v59, 0x2fb7, v59
	v_add_f16_e32 v10, v11, v10
	v_add_f16_e32 v11, v41, v39
	;; [unrolled: 1-line block ×3, first 2 shown]
	v_fma_f16 v17, v50, s26, v52
	v_add_f16_e32 v114, v115, v114
	v_fma_f16 v115, v57, s22, v59
	v_mul_f16_e32 v62, 0xb5ac, v62
	v_add_f16_e32 v11, v42, v11
	v_add_f16_e32 v17, v39, v17
	v_fma_f16 v18, v54, s21, v56
	v_add_f16_e32 v114, v115, v114
	v_fma_f16 v115, v60, s27, v62
	v_mul_f16_e32 v65, 0xb9fd, v65
	v_add_f16_e32 v11, v43, v11
	v_add_f16_e32 v17, v18, v17
	;; [unrolled: 6-line block ×5, first 2 shown]
	v_fma_f16 v18, v66, s23, v68
	v_add_f16_e32 v110, v116, v110
	v_add_f16_e32 v115, v12, v115
	v_fma_f16 v116, v73, s17, v74
	v_mul_f16_e32 v77, 0xbbf1, v77
	v_add_f16_e32 v11, v47, v11
	v_add_f16_e32 v17, v18, v17
	v_fma_f16 v18, v69, s7, -v70
	v_add_f16_e32 v115, v116, v115
	v_fma_f16 v116, v76, s14, v77
	v_mul_f16_e32 v80, 0xbb7b, v80
	v_add_f16_e32 v11, v49, v11
	v_add_f16_e32 v12, v12, v18
	v_fma_f16 v18, v73, s17, -v74
	;; [unrolled: 6-line block ×4, first 2 shown]
	v_add_f16_e32 v115, v116, v115
	v_fma_f16 v116, v85, s15, v86
	v_add_f16_e32 v11, v28, v11
	v_add_f16_e32 v12, v18, v12
	v_fma_f16 v18, v82, s5, -v83
	v_add_f16_e32 v115, v116, v115
	v_add_f16_e32 v10, v27, v10
	;; [unrolled: 1-line block ×4, first 2 shown]
	v_fma_f16 v18, v85, s15, -v86
	v_add_f16_e32 v12, v18, v12
	v_lshl_add_u32 v18, v25, 2, v24
	v_pack_b32_f16 v19, v115, v114
	v_pack_b32_f16 v10, v10, v11
	ds_write2_b32 v18, v10, v19 offset1:1
	v_pack_b32_f16 v10, v84, v61
	v_pack_b32_f16 v11, v107, v97
	ds_write2_b32 v18, v11, v10 offset0:2 offset1:3
	v_pack_b32_f16 v10, v90, v88
	v_pack_b32_f16 v11, v55, v51
	ds_write2_b32 v18, v11, v10 offset0:4 offset1:5
	;; [unrolled: 3-line block ×5, first 2 shown]
	v_pack_b32_f16 v10, v12, v17
	ds_write_b32 v18, v10 offset:48
.LBB0_13:
	s_or_b64 exec, exec, s[0:1]
	s_waitcnt lgkmcnt(0)
	; wave barrier
	s_waitcnt lgkmcnt(0)
	ds_read2_b32 v[10:11], v30 offset1:26
	ds_read2_b32 v[12:13], v30 offset0:52 offset1:78
	ds_read2_b32 v[14:15], v30 offset0:104 offset1:130
	;; [unrolled: 1-line block ×4, first 2 shown]
	s_waitcnt lgkmcnt(4)
	v_lshrrev_b32_e32 v21, 16, v11
	v_mul_f16_sdwa v42, v0, v21 dst_sel:DWORD dst_unused:UNUSED_PAD src0_sel:WORD_1 src1_sel:DWORD
	s_waitcnt lgkmcnt(3)
	v_lshrrev_b32_e32 v24, 16, v12
	v_fma_f16 v42, v0, v11, v42
	v_mul_f16_sdwa v11, v0, v11 dst_sel:DWORD dst_unused:UNUSED_PAD src0_sel:WORD_1 src1_sel:DWORD
	v_fma_f16 v0, v0, v21, -v11
	v_mul_f16_sdwa v11, v1, v24 dst_sel:DWORD dst_unused:UNUSED_PAD src0_sel:WORD_1 src1_sel:DWORD
	v_lshrrev_b32_e32 v25, 16, v13
	v_fma_f16 v11, v1, v12, v11
	v_mul_f16_sdwa v12, v1, v12 dst_sel:DWORD dst_unused:UNUSED_PAD src0_sel:WORD_1 src1_sel:DWORD
	v_fma_f16 v1, v1, v24, -v12
	v_mul_f16_sdwa v12, v2, v25 dst_sel:DWORD dst_unused:UNUSED_PAD src0_sel:WORD_1 src1_sel:DWORD
	s_waitcnt lgkmcnt(2)
	v_lshrrev_b32_e32 v26, 16, v14
	v_fma_f16 v12, v2, v13, v12
	v_mul_f16_sdwa v13, v2, v13 dst_sel:DWORD dst_unused:UNUSED_PAD src0_sel:WORD_1 src1_sel:DWORD
	v_fma_f16 v2, v2, v25, -v13
	v_mul_f16_sdwa v13, v3, v26 dst_sel:DWORD dst_unused:UNUSED_PAD src0_sel:WORD_1 src1_sel:DWORD
	v_lshrrev_b32_e32 v27, 16, v15
	v_fma_f16 v13, v3, v14, v13
	v_mul_f16_sdwa v14, v3, v14 dst_sel:DWORD dst_unused:UNUSED_PAD src0_sel:WORD_1 src1_sel:DWORD
	v_fma_f16 v3, v3, v26, -v14
	;; [unrolled: 11-line block ×3, first 2 shown]
	v_mul_f16_sdwa v16, v6, v29 dst_sel:DWORD dst_unused:UNUSED_PAD src0_sel:WORD_1 src1_sel:DWORD
	s_waitcnt lgkmcnt(0)
	v_lshrrev_b32_e32 v39, 16, v18
	v_fma_f16 v16, v6, v17, v16
	v_mul_f16_sdwa v17, v6, v17 dst_sel:DWORD dst_unused:UNUSED_PAD src0_sel:WORD_1 src1_sel:DWORD
	v_fma_f16 v6, v6, v29, -v17
	v_mul_f16_sdwa v17, v7, v39 dst_sel:DWORD dst_unused:UNUSED_PAD src0_sel:WORD_1 src1_sel:DWORD
	v_fma_f16 v17, v7, v18, v17
	v_mul_f16_sdwa v18, v7, v18 dst_sel:DWORD dst_unused:UNUSED_PAD src0_sel:WORD_1 src1_sel:DWORD
	v_fma_f16 v7, v7, v39, -v18
	v_add_f16_e32 v24, v13, v15
	v_fma_f16 v24, v24, -0.5, v10
	v_sub_f16_e32 v25, v1, v7
	s_mov_b32 s0, 0xbb9c
	s_movk_i32 s5, 0x3b9c
	v_fma_f16 v26, v25, s0, v24
	v_sub_f16_e32 v27, v3, v5
	s_mov_b32 s1, 0xb8b4
	v_sub_f16_e32 v28, v11, v13
	v_sub_f16_e32 v29, v17, v15
	v_fma_f16 v24, v25, s5, v24
	s_movk_i32 s6, 0x38b4
	v_fma_f16 v26, v27, s1, v26
	v_add_f16_e32 v28, v28, v29
	s_movk_i32 s4, 0x34f2
	v_fma_f16 v24, v27, s6, v24
	v_lshrrev_b32_e32 v41, 16, v19
	v_fma_f16 v26, v28, s4, v26
	v_fma_f16 v24, v28, s4, v24
	v_add_f16_e32 v28, v11, v17
	v_lshrrev_b32_e32 v20, 16, v10
	v_mul_f16_sdwa v18, v31, v41 dst_sel:DWORD dst_unused:UNUSED_PAD src0_sel:WORD_1 src1_sel:DWORD
	v_add_f16_e32 v21, v10, v11
	v_fma_f16 v10, v28, -0.5, v10
	v_fma_f16 v18, v31, v19, v18
	v_mul_f16_sdwa v19, v31, v19 dst_sel:DWORD dst_unused:UNUSED_PAD src0_sel:WORD_1 src1_sel:DWORD
	v_add_f16_e32 v21, v21, v13
	v_fma_f16 v28, v27, s5, v10
	v_fma_f16 v10, v27, s0, v10
	v_add_f16_e32 v27, v3, v5
	v_fma_f16 v19, v31, v41, -v19
	v_add_f16_e32 v21, v21, v15
	v_sub_f16_e32 v29, v13, v11
	v_sub_f16_e32 v31, v15, v17
	v_fma_f16 v27, v27, -0.5, v20
	v_sub_f16_e32 v11, v11, v17
	v_add_f16_e32 v21, v21, v17
	v_fma_f16 v28, v25, s1, v28
	v_add_f16_e32 v29, v29, v31
	v_fma_f16 v10, v25, s6, v10
	v_fma_f16 v17, v11, s5, v27
	v_sub_f16_e32 v13, v13, v15
	v_fma_f16 v28, v29, s4, v28
	v_fma_f16 v10, v29, s4, v10
	;; [unrolled: 1-line block ×3, first 2 shown]
	v_sub_f16_e32 v17, v1, v3
	v_sub_f16_e32 v29, v7, v5
	v_fma_f16 v27, v11, s0, v27
	v_add_f16_e32 v25, v20, v1
	v_add_f16_e32 v17, v17, v29
	v_fma_f16 v27, v13, s1, v27
	v_add_f16_e32 v25, v25, v3
	v_fma_f16 v15, v17, s4, v15
	v_fma_f16 v17, v17, s4, v27
	v_add_f16_e32 v27, v1, v7
	v_add_f16_e32 v25, v25, v5
	v_fma_f16 v20, v27, -0.5, v20
	v_add_f16_e32 v25, v25, v7
	v_fma_f16 v27, v13, s0, v20
	v_sub_f16_e32 v1, v3, v1
	v_sub_f16_e32 v3, v5, v7
	v_fma_f16 v5, v13, s5, v20
	v_add_f16_e32 v7, v14, v16
	v_fma_f16 v27, v11, s6, v27
	v_add_f16_e32 v1, v1, v3
	v_fma_f16 v5, v11, s1, v5
	v_fma_f16 v7, v7, -0.5, v42
	v_sub_f16_e32 v11, v2, v19
	v_fma_f16 v3, v1, s4, v27
	v_fma_f16 v13, v11, s0, v7
	v_sub_f16_e32 v20, v4, v6
	v_sub_f16_e32 v27, v12, v14
	;; [unrolled: 1-line block ×3, first 2 shown]
	v_fma_f16 v7, v11, s5, v7
	v_fma_f16 v13, v20, s1, v13
	v_add_f16_e32 v27, v27, v29
	v_fma_f16 v7, v20, s6, v7
	v_fma_f16 v13, v27, s4, v13
	;; [unrolled: 1-line block ×3, first 2 shown]
	v_add_f16_e32 v27, v12, v18
	v_fma_f16 v1, v1, s4, v5
	v_add_f16_e32 v5, v42, v12
	v_fma_f16 v27, v27, -0.5, v42
	v_add_f16_e32 v5, v5, v14
	v_fma_f16 v29, v20, s5, v27
	v_fma_f16 v20, v20, s0, v27
	v_add_f16_e32 v27, v4, v6
	v_add_f16_e32 v5, v5, v16
	v_sub_f16_e32 v31, v14, v12
	v_sub_f16_e32 v39, v16, v18
	v_fma_f16 v27, v27, -0.5, v0
	v_sub_f16_e32 v12, v12, v18
	v_add_f16_e32 v5, v5, v18
	v_fma_f16 v29, v11, s1, v29
	v_add_f16_e32 v31, v31, v39
	v_fma_f16 v11, v11, s6, v20
	v_fma_f16 v18, v12, s5, v27
	v_sub_f16_e32 v14, v14, v16
	v_fma_f16 v29, v31, s4, v29
	v_fma_f16 v11, v31, s4, v11
	;; [unrolled: 1-line block ×3, first 2 shown]
	v_sub_f16_e32 v18, v2, v4
	v_sub_f16_e32 v31, v19, v6
	v_fma_f16 v27, v12, s0, v27
	v_add_f16_e32 v18, v18, v31
	v_fma_f16 v27, v14, s1, v27
	v_fma_f16 v16, v18, s4, v16
	;; [unrolled: 1-line block ×3, first 2 shown]
	v_add_f16_e32 v27, v2, v19
	v_add_f16_e32 v20, v0, v2
	v_fma_f16 v0, v27, -0.5, v0
	v_add_f16_e32 v20, v20, v4
	v_fma_f16 v27, v14, s0, v0
	v_sub_f16_e32 v2, v4, v2
	v_sub_f16_e32 v4, v6, v19
	v_fma_f16 v0, v14, s5, v0
	v_fma_f16 v27, v12, s6, v27
	v_add_f16_e32 v2, v2, v4
	v_fma_f16 v0, v12, s1, v0
	v_add_f16_e32 v20, v20, v6
	v_fma_f16 v4, v2, s4, v27
	v_fma_f16 v0, v2, s4, v0
	v_mul_f16_e32 v6, 0xb8b4, v16
	s_movk_i32 s0, 0x3a79
	v_mul_f16_e32 v16, 0x3a79, v16
	v_add_f16_e32 v20, v20, v19
	v_fma_f16 v6, v13, s0, v6
	v_mul_f16_e32 v14, 0xbb9c, v4
	v_mul_f16_e32 v27, 0xbb9c, v0
	s_mov_b32 s0, 0xb4f2
	v_fma_f16 v13, v13, s6, v16
	v_mul_f16_e32 v4, 0x34f2, v4
	v_mul_f16_e32 v0, 0xb4f2, v0
	v_add_f16_e32 v2, v21, v5
	v_add_f16_e32 v12, v26, v6
	v_fma_f16 v14, v29, s4, v14
	v_fma_f16 v27, v11, s0, v27
	v_mul_f16_e32 v39, 0xb8b4, v18
	s_mov_b32 s0, 0xba79
	v_add_f16_e32 v42, v25, v20
	v_add_f16_e32 v16, v15, v13
	v_fma_f16 v4, v29, s5, v4
	v_fma_f16 v0, v11, s5, v0
	v_mul_f16_e32 v18, 0xba79, v18
	v_add_f16_e32 v19, v28, v14
	v_add_f16_e32 v31, v10, v27
	v_fma_f16 v39, v7, s0, v39
	v_add_f16_e32 v29, v3, v4
	v_add_f16_e32 v11, v1, v0
	v_fma_f16 v7, v7, s6, v18
	v_sub_f16_e32 v3, v3, v4
	v_pack_b32_f16 v2, v2, v42
	v_pack_b32_f16 v4, v12, v16
	v_add_f16_e32 v41, v24, v39
	v_add_f16_e32 v18, v17, v7
	v_sub_f16_e32 v5, v21, v5
	v_sub_f16_e32 v20, v25, v20
	s_waitcnt lgkmcnt(0)
	; wave barrier
	ds_write2_b32 v32, v2, v4 offset1:13
	v_pack_b32_f16 v2, v19, v29
	v_pack_b32_f16 v4, v31, v11
	v_sub_f16_e32 v6, v26, v6
	v_sub_f16_e32 v14, v28, v14
	;; [unrolled: 1-line block ×7, first 2 shown]
	ds_write2_b32 v32, v2, v4 offset0:26 offset1:39
	v_pack_b32_f16 v2, v41, v18
	v_pack_b32_f16 v4, v5, v20
	ds_write2_b32 v32, v2, v4 offset0:52 offset1:65
	v_pack_b32_f16 v2, v6, v13
	v_pack_b32_f16 v3, v14, v3
	;; [unrolled: 1-line block ×4, first 2 shown]
	ds_write2_b32 v32, v2, v3 offset0:78 offset1:91
	ds_write2_b32 v32, v0, v1 offset0:104 offset1:117
	s_waitcnt lgkmcnt(0)
	; wave barrier
	s_waitcnt lgkmcnt(0)
	ds_read2_b32 v[0:1], v30 offset1:26
	ds_read2_b32 v[2:3], v30 offset0:104 offset1:130
	ds_read2_b32 v[4:5], v30 offset0:156 offset1:182
	ds_read2_b32 v[6:7], v30 offset0:52 offset1:78
	ds_read2_b32 v[10:11], v30 offset0:208 offset1:234
	s_waitcnt lgkmcnt(4)
	v_lshrrev_b32_e32 v12, 16, v0
	s_waitcnt lgkmcnt(3)
	v_lshrrev_b32_e32 v13, 16, v3
	v_mul_f16_sdwa v24, v34, v13 dst_sel:DWORD dst_unused:UNUSED_PAD src0_sel:WORD_1 src1_sel:DWORD
	s_waitcnt lgkmcnt(2)
	v_lshrrev_b32_e32 v15, 16, v4
	v_fma_f16 v24, v34, v3, v24
	v_mul_f16_sdwa v3, v34, v3 dst_sel:DWORD dst_unused:UNUSED_PAD src0_sel:WORD_1 src1_sel:DWORD
	v_fma_f16 v3, v34, v13, -v3
	v_mul_f16_sdwa v13, v35, v15 dst_sel:DWORD dst_unused:UNUSED_PAD src0_sel:WORD_1 src1_sel:DWORD
	v_lshrrev_b32_e32 v17, 16, v5
	v_fma_f16 v13, v35, v4, v13
	v_mul_f16_sdwa v4, v35, v4 dst_sel:DWORD dst_unused:UNUSED_PAD src0_sel:WORD_1 src1_sel:DWORD
	v_fma_f16 v4, v35, v15, -v4
	v_mul_f16_sdwa v15, v36, v17 dst_sel:DWORD dst_unused:UNUSED_PAD src0_sel:WORD_1 src1_sel:DWORD
	s_waitcnt lgkmcnt(0)
	v_lshrrev_b32_e32 v19, 16, v10
	v_fma_f16 v15, v36, v5, v15
	v_mul_f16_sdwa v5, v36, v5 dst_sel:DWORD dst_unused:UNUSED_PAD src0_sel:WORD_1 src1_sel:DWORD
	v_fma_f16 v5, v36, v17, -v5
	v_mul_f16_sdwa v17, v37, v19 dst_sel:DWORD dst_unused:UNUSED_PAD src0_sel:WORD_1 src1_sel:DWORD
	v_lshrrev_b32_e32 v21, 16, v11
	v_fma_f16 v17, v37, v10, v17
	v_mul_f16_sdwa v10, v37, v10 dst_sel:DWORD dst_unused:UNUSED_PAD src0_sel:WORD_1 src1_sel:DWORD
	v_fma_f16 v10, v37, v19, -v10
	v_mul_f16_sdwa v19, v38, v21 dst_sel:DWORD dst_unused:UNUSED_PAD src0_sel:WORD_1 src1_sel:DWORD
	v_lshrrev_b32_e32 v14, 16, v1
	v_fma_f16 v19, v38, v11, v19
	v_mul_f16_sdwa v11, v38, v11 dst_sel:DWORD dst_unused:UNUSED_PAD src0_sel:WORD_1 src1_sel:DWORD
	v_fma_f16 v11, v38, v21, -v11
	v_sub_f16_e32 v21, v0, v24
	v_sub_f16_e32 v3, v12, v3
	;; [unrolled: 1-line block ×4, first 2 shown]
	v_lshrrev_b32_e32 v16, 16, v6
	v_lshrrev_b32_e32 v18, 16, v7
	v_fma_f16 v0, v0, 2.0, -v21
	v_fma_f16 v12, v12, 2.0, -v3
	;; [unrolled: 1-line block ×4, first 2 shown]
	v_sub_f16_e32 v15, v6, v15
	v_sub_f16_e32 v5, v16, v5
	;; [unrolled: 1-line block ×4, first 2 shown]
	v_pack_b32_f16 v0, v0, v12
	v_pack_b32_f16 v1, v1, v14
	v_lshrrev_b32_e32 v20, 16, v2
	v_fma_f16 v6, v6, 2.0, -v15
	v_fma_f16 v16, v16, 2.0, -v5
	;; [unrolled: 1-line block ×4, first 2 shown]
	ds_write2_b32 v33, v0, v1 offset1:26
	v_pack_b32_f16 v0, v13, v4
	v_pack_b32_f16 v4, v15, v5
	v_sub_f16_e32 v19, v2, v19
	v_sub_f16_e32 v11, v20, v11
	v_pack_b32_f16 v1, v6, v16
	ds_write2_b32 v33, v0, v4 offset0:156 offset1:182
	v_pack_b32_f16 v0, v7, v18
	v_fma_f16 v2, v2, 2.0, -v19
	v_fma_f16 v20, v20, 2.0, -v11
	ds_write2_b32 v33, v1, v0 offset0:52 offset1:78
	v_pack_b32_f16 v0, v17, v10
	v_pack_b32_f16 v3, v21, v3
	ds_write_b32 v33, v0 offset:832
	v_pack_b32_f16 v0, v2, v20
	ds_write2_b32 v33, v0, v3 offset0:104 offset1:130
	v_pack_b32_f16 v0, v19, v11
	ds_write_b32 v40, v0 offset:520
	s_waitcnt lgkmcnt(0)
	; wave barrier
	s_waitcnt lgkmcnt(0)
	s_and_b64 exec, exec, vcc
	s_cbranch_execz .LBB0_15
; %bb.14:
	global_load_dword v7, v22, s[12:13]
	ds_read_b32 v15, v33
	global_load_dword v5, v22, s[12:13] offset:80
	global_load_dword v10, v22, s[12:13] offset:160
	;; [unrolled: 1-line block ×7, first 2 shown]
	v_mad_u64_u32 v[2:3], s[0:1], s10, v8, 0
	v_mov_b32_e32 v16, v3
	s_waitcnt lgkmcnt(0)
	v_lshrrev_b32_e32 v3, 16, v15
	s_mov_b32 s6, 0x1f81f820
	s_mov_b32 s7, 0x3f6f81f8
	s_movk_i32 s10, 0x1ff
	s_movk_i32 s14, 0xffe
	s_mov_b32 s16, 0x8000
	v_mov_b32_e32 v0, s2
	v_mov_b32_e32 v1, s3
	;; [unrolled: 1-line block ×3, first 2 shown]
	s_movk_i32 s15, 0x40f
	s_waitcnt vmcnt(7)
	v_mul_f16_sdwa v17, v3, v7 dst_sel:DWORD dst_unused:UNUSED_PAD src0_sel:DWORD src1_sel:WORD_1
	v_mul_f16_sdwa v18, v15, v7 dst_sel:DWORD dst_unused:UNUSED_PAD src0_sel:DWORD src1_sel:WORD_1
	v_fma_f16 v15, v15, v7, v17
	v_fma_f16 v3, v7, v3, -v18
	v_cvt_f32_f16_e32 v7, v15
	v_cvt_f32_f16_e32 v15, v3
	v_mad_u64_u32 v[16:17], s[0:1], s11, v8, v[16:17]
	v_mov_b32_e32 v3, v16
	v_cvt_f64_f32_e32 v[16:17], v7
	v_cvt_f64_f32_e32 v[18:19], v15
	v_mul_f64 v[16:17], v[16:17], s[6:7]
	v_mul_f64 v[18:19], v[18:19], s[6:7]
	v_and_or_b32 v7, v17, s10, v16
	v_and_or_b32 v16, v19, s10, v18
	v_cmp_ne_u32_e32 vcc, 0, v7
	v_lshrrev_b32_e32 v8, 8, v17
	v_bfe_u32 v15, v17, 20, 11
	v_cndmask_b32_e64 v7, 0, 1, vcc
	v_cmp_ne_u32_e32 vcc, 0, v16
	v_and_b32_sdwa v24, v17, s16 dst_sel:DWORD dst_unused:UNUSED_PAD src0_sel:WORD_1 src1_sel:DWORD
	v_lshrrev_b32_e32 v17, 8, v19
	v_bfe_u32 v18, v19, 20, 11
	v_sub_u32_e32 v20, 0x3f1, v15
	v_cndmask_b32_e64 v16, 0, 1, vcc
	v_and_or_b32 v7, v8, s14, v7
	v_sub_u32_e32 v21, 0x3f1, v18
	v_med3_i32 v8, v20, 0, 13
	v_and_or_b32 v16, v17, s14, v16
	v_or_b32_e32 v20, 0x1000, v7
	v_add_u32_e32 v15, 0xfffffc10, v15
	v_med3_i32 v17, v21, 0, 13
	v_cmp_ne_u32_e32 vcc, 0, v7
	v_or_b32_e32 v25, 0x1000, v16
	v_lshrrev_b32_e32 v27, v8, v20
	v_add_u32_e32 v18, 0xfffffc10, v18
	v_lshl_or_b32 v21, v15, 12, v7
	v_cndmask_b32_e64 v7, 0, 1, vcc
	v_cmp_ne_u32_e32 vcc, 0, v16
	v_lshrrev_b32_e32 v28, v17, v25
	v_lshlrev_b32_e32 v8, v8, v27
	v_lshl_or_b32 v26, v18, 12, v16
	v_cndmask_b32_e64 v16, 0, 1, vcc
	v_lshlrev_b32_e32 v17, v17, v28
	v_cmp_ne_u32_e32 vcc, v8, v20
	v_lshl_or_b32 v7, v7, 9, v6
	v_lshl_or_b32 v16, v16, 9, v6
	v_cndmask_b32_e64 v8, 0, 1, vcc
	v_cmp_ne_u32_e32 vcc, v17, v25
	v_or_b32_e32 v8, v27, v8
	v_lshrrev_b32_e32 v19, 16, v19
	v_cndmask_b32_e64 v17, 0, 1, vcc
	v_cmp_gt_i32_e32 vcc, 1, v15
	v_or_b32_e32 v17, v28, v17
	v_lshl_add_u64 v[0:1], v[2:3], 2, v[0:1]
	v_cndmask_b32_e32 v8, v21, v8, vcc
	v_cmp_gt_i32_e32 vcc, 1, v18
	v_and_b32_e32 v20, 7, v8
	v_cmp_eq_u32_e64 s[0:1], 3, v20
	v_cndmask_b32_e32 v17, v26, v17, vcc
	v_cmp_lt_i32_e32 vcc, 5, v20
	v_lshrrev_b32_e32 v8, 2, v8
	v_and_b32_e32 v21, 7, v17
	s_or_b64 vcc, s[0:1], vcc
	v_cmp_lt_i32_e64 s[2:3], 5, v21
	v_cmp_eq_u32_e64 s[4:5], 3, v21
	v_addc_co_u32_e32 v8, vcc, 0, v8, vcc
	v_lshrrev_b32_e32 v17, 2, v17
	s_or_b64 vcc, s[4:5], s[2:3]
	v_addc_co_u32_e32 v17, vcc, 0, v17, vcc
	v_cmp_gt_i32_e32 vcc, 31, v15
	s_mov_b32 s2, 0xffff
	s_mul_i32 s3, s9, 0x50
	v_cndmask_b32_e32 v8, v6, v8, vcc
	v_cmp_gt_i32_e32 vcc, 31, v18
	s_nop 1
	v_cndmask_b32_e32 v17, v6, v17, vcc
	v_cmp_eq_u32_e32 vcc, s15, v15
	s_nop 1
	v_cndmask_b32_e32 v7, v8, v7, vcc
	v_cmp_eq_u32_e32 vcc, s15, v18
	v_bitop3_b32 v7, v24, s2, v7 bitop3:0xc8
	s_nop 0
	v_cndmask_b32_e32 v8, v17, v16, vcc
	v_mad_u64_u32 v[16:17], s[0:1], s8, v9, 0
	v_and_or_b32 v15, v19, s16, v8
	v_mov_b32_e32 v8, v17
	v_mad_u64_u32 v[18:19], s[0:1], s9, v9, v[8:9]
	v_lshl_add_u32 v8, v23, 2, v22
	ds_read2_b32 v[20:21], v8 offset0:20 offset1:40
	v_lshl_or_b32 v7, v15, 16, v7
	v_mov_b32_e32 v17, v18
	v_lshl_add_u64 v[2:3], v[16:17], 2, v[0:1]
	global_store_dword v[2:3], v7, off
	s_waitcnt lgkmcnt(0)
	v_lshrrev_b32_e32 v15, 16, v20
	s_waitcnt vmcnt(7)
	v_mul_f16_sdwa v18, v15, v5 dst_sel:DWORD dst_unused:UNUSED_PAD src0_sel:DWORD src1_sel:WORD_1
	v_fma_f16 v18, v20, v5, v18
	v_cvt_f32_f16_e32 v18, v18
	v_or_b32_e32 v9, 0xa0, v9
	v_cvt_f64_f32_e32 v[16:17], v18
	v_mul_f64 v[16:17], v[16:17], s[6:7]
	v_and_or_b32 v7, v17, s10, v16
	v_cmp_ne_u32_e32 vcc, 0, v7
	v_lshrrev_b32_e32 v16, 8, v17
	v_bfe_u32 v18, v17, 20, 11
	v_cndmask_b32_e64 v7, 0, 1, vcc
	v_and_or_b32 v7, v16, s14, v7
	v_sub_u32_e32 v19, 0x3f1, v18
	v_or_b32_e32 v16, 0x1000, v7
	v_med3_i32 v19, v19, 0, 13
	v_lshrrev_b32_e32 v23, v19, v16
	v_lshlrev_b32_e32 v19, v19, v23
	v_cmp_ne_u32_e32 vcc, v19, v16
	v_add_u32_e32 v18, 0xfffffc10, v18
	v_lshl_or_b32 v19, v18, 12, v7
	v_cndmask_b32_e64 v16, 0, 1, vcc
	v_or_b32_e32 v16, v23, v16
	v_cmp_gt_i32_e32 vcc, 1, v18
	s_nop 1
	v_cndmask_b32_e32 v16, v19, v16, vcc
	v_and_b32_e32 v19, 7, v16
	v_cmp_lt_i32_e32 vcc, 5, v19
	v_cmp_eq_u32_e64 s[0:1], 3, v19
	v_lshrrev_b32_e32 v16, 2, v16
	s_or_b64 vcc, s[0:1], vcc
	v_mul_f16_sdwa v19, v20, v5 dst_sel:DWORD dst_unused:UNUSED_PAD src0_sel:DWORD src1_sel:WORD_1
	v_addc_co_u32_e32 v16, vcc, 0, v16, vcc
	v_fma_f16 v5, v5, v15, -v19
	v_cmp_gt_i32_e32 vcc, 31, v18
	v_cvt_f32_f16_e32 v5, v5
	v_and_b32_sdwa v15, v17, s16 dst_sel:DWORD dst_unused:UNUSED_PAD src0_sel:WORD_1 src1_sel:DWORD
	v_cndmask_b32_e32 v16, v6, v16, vcc
	v_cmp_ne_u32_e32 vcc, 0, v7
	s_nop 1
	v_cndmask_b32_e64 v7, 0, 1, vcc
	v_lshl_or_b32 v7, v7, 9, v6
	v_cmp_eq_u32_e32 vcc, s15, v18
	s_nop 1
	v_cndmask_b32_e32 v7, v16, v7, vcc
	v_cvt_f64_f32_e32 v[16:17], v5
	v_mul_f64 v[16:17], v[16:17], s[6:7]
	v_and_or_b32 v5, v17, s10, v16
	v_cmp_ne_u32_e32 vcc, 0, v5
	v_lshrrev_b32_e32 v16, 8, v17
	v_bfe_u32 v18, v17, 20, 11
	v_cndmask_b32_e64 v5, 0, 1, vcc
	v_and_or_b32 v5, v16, s14, v5
	v_sub_u32_e32 v19, 0x3f1, v18
	v_or_b32_e32 v16, 0x1000, v5
	v_med3_i32 v19, v19, 0, 13
	v_lshrrev_b32_e32 v20, v19, v16
	v_lshlrev_b32_e32 v19, v19, v20
	v_cmp_ne_u32_e32 vcc, v19, v16
	v_add_u32_e32 v18, 0xfffffc10, v18
	v_lshl_or_b32 v19, v18, 12, v5
	v_cndmask_b32_e64 v16, 0, 1, vcc
	v_or_b32_e32 v16, v20, v16
	v_cmp_gt_i32_e32 vcc, 1, v18
	v_bitop3_b32 v7, v15, s2, v7 bitop3:0xc8
	v_lshrrev_b32_e32 v15, 16, v21
	v_cndmask_b32_e32 v16, v19, v16, vcc
	v_and_b32_e32 v19, 7, v16
	v_cmp_lt_i32_e32 vcc, 5, v19
	v_cmp_eq_u32_e64 s[0:1], 3, v19
	v_lshrrev_b32_e32 v16, 2, v16
	s_or_b64 vcc, s[0:1], vcc
	v_addc_co_u32_e32 v16, vcc, 0, v16, vcc
	v_cmp_gt_i32_e32 vcc, 31, v18
	s_nop 1
	v_cndmask_b32_e32 v16, v6, v16, vcc
	v_cmp_ne_u32_e32 vcc, 0, v5
	s_nop 1
	v_cndmask_b32_e64 v5, 0, 1, vcc
	v_lshl_or_b32 v5, v5, 9, v6
	v_cmp_eq_u32_e32 vcc, s15, v18
	s_nop 1
	v_cndmask_b32_e32 v5, v16, v5, vcc
	v_lshrrev_b32_e32 v16, 16, v17
	v_and_or_b32 v5, v16, s16, v5
	s_waitcnt vmcnt(6)
	v_mul_f16_sdwa v16, v15, v10 dst_sel:DWORD dst_unused:UNUSED_PAD src0_sel:DWORD src1_sel:WORD_1
	v_fma_f16 v16, v21, v10, v16
	v_cvt_f32_f16_e32 v16, v16
	v_lshl_or_b32 v5, v5, 16, v7
	v_mov_b32_e32 v7, 0x50
	v_mad_u64_u32 v[2:3], s[0:1], s8, v7, v[2:3]
	v_cvt_f64_f32_e32 v[16:17], v16
	v_add_u32_e32 v3, s3, v3
	v_mul_f64 v[16:17], v[16:17], s[6:7]
	global_store_dword v[2:3], v5, off
	v_and_or_b32 v5, v17, s10, v16
	v_cmp_ne_u32_e32 vcc, 0, v5
	v_lshrrev_b32_e32 v16, 8, v17
	v_bfe_u32 v18, v17, 20, 11
	v_cndmask_b32_e64 v5, 0, 1, vcc
	v_and_or_b32 v5, v16, s14, v5
	v_sub_u32_e32 v19, 0x3f1, v18
	v_or_b32_e32 v16, 0x1000, v5
	v_med3_i32 v19, v19, 0, 13
	v_lshrrev_b32_e32 v20, v19, v16
	v_lshlrev_b32_e32 v19, v19, v20
	v_cmp_ne_u32_e32 vcc, v19, v16
	v_add_u32_e32 v18, 0xfffffc10, v18
	v_lshl_or_b32 v19, v18, 12, v5
	v_cndmask_b32_e64 v16, 0, 1, vcc
	v_or_b32_e32 v16, v20, v16
	v_cmp_gt_i32_e32 vcc, 1, v18
	s_nop 1
	v_cndmask_b32_e32 v16, v19, v16, vcc
	v_and_b32_e32 v19, 7, v16
	v_cmp_lt_i32_e32 vcc, 5, v19
	v_cmp_eq_u32_e64 s[0:1], 3, v19
	v_lshrrev_b32_e32 v16, 2, v16
	s_or_b64 vcc, s[0:1], vcc
	v_mul_f16_sdwa v19, v21, v10 dst_sel:DWORD dst_unused:UNUSED_PAD src0_sel:DWORD src1_sel:WORD_1
	v_addc_co_u32_e32 v16, vcc, 0, v16, vcc
	v_fma_f16 v10, v10, v15, -v19
	v_cmp_gt_i32_e32 vcc, 31, v18
	v_cvt_f32_f16_e32 v10, v10
	v_and_b32_sdwa v15, v17, s16 dst_sel:DWORD dst_unused:UNUSED_PAD src0_sel:WORD_1 src1_sel:DWORD
	v_cndmask_b32_e32 v16, v6, v16, vcc
	v_cmp_ne_u32_e32 vcc, 0, v5
	s_nop 1
	v_cndmask_b32_e64 v5, 0, 1, vcc
	v_lshl_or_b32 v5, v5, 9, v6
	v_cmp_eq_u32_e32 vcc, s15, v18
	s_nop 1
	v_cndmask_b32_e32 v5, v16, v5, vcc
	v_cvt_f64_f32_e32 v[16:17], v10
	v_mul_f64 v[16:17], v[16:17], s[6:7]
	v_and_or_b32 v10, v17, s10, v16
	v_cmp_ne_u32_e32 vcc, 0, v10
	v_lshrrev_b32_e32 v16, 8, v17
	v_bfe_u32 v18, v17, 20, 11
	v_cndmask_b32_e64 v10, 0, 1, vcc
	v_and_or_b32 v10, v16, s14, v10
	v_sub_u32_e32 v19, 0x3f1, v18
	v_or_b32_e32 v16, 0x1000, v10
	v_med3_i32 v19, v19, 0, 13
	v_lshrrev_b32_e32 v20, v19, v16
	v_lshlrev_b32_e32 v19, v19, v20
	v_cmp_ne_u32_e32 vcc, v19, v16
	v_add_u32_e32 v18, 0xfffffc10, v18
	v_lshl_or_b32 v19, v18, 12, v10
	v_cndmask_b32_e64 v16, 0, 1, vcc
	v_or_b32_e32 v16, v20, v16
	v_cmp_gt_i32_e32 vcc, 1, v18
	v_bitop3_b32 v5, v15, s2, v5 bitop3:0xc8
	s_nop 0
	v_cndmask_b32_e32 v16, v19, v16, vcc
	v_and_b32_e32 v19, 7, v16
	v_cmp_lt_i32_e32 vcc, 5, v19
	v_cmp_eq_u32_e64 s[0:1], 3, v19
	v_lshrrev_b32_e32 v16, 2, v16
	s_or_b64 vcc, s[0:1], vcc
	v_addc_co_u32_e32 v16, vcc, 0, v16, vcc
	v_cmp_gt_i32_e32 vcc, 31, v18
	v_mad_u64_u32 v[2:3], s[0:1], s8, v7, v[2:3]
	s_nop 0
	v_cndmask_b32_e32 v16, v6, v16, vcc
	v_cmp_ne_u32_e32 vcc, 0, v10
	v_add_u32_e32 v3, s3, v3
	s_nop 0
	v_cndmask_b32_e64 v10, 0, 1, vcc
	v_cmp_eq_u32_e32 vcc, s15, v18
	ds_read2_b32 v[18:19], v8 offset0:60 offset1:80
	v_lshl_or_b32 v10, v10, 9, v6
	v_cndmask_b32_e32 v10, v16, v10, vcc
	v_lshrrev_b32_e32 v16, 16, v17
	v_and_or_b32 v10, v16, s16, v10
	v_lshl_or_b32 v5, v10, 16, v5
	s_waitcnt lgkmcnt(0)
	v_lshrrev_b32_e32 v10, 16, v18
	s_waitcnt vmcnt(6)
	v_mul_f16_sdwa v15, v10, v11 dst_sel:DWORD dst_unused:UNUSED_PAD src0_sel:DWORD src1_sel:WORD_1
	v_fma_f16 v15, v18, v11, v15
	v_cvt_f32_f16_e32 v15, v15
	global_store_dword v[2:3], v5, off
	v_mul_f16_sdwa v18, v18, v11 dst_sel:DWORD dst_unused:UNUSED_PAD src0_sel:DWORD src1_sel:WORD_1
	v_fma_f16 v10, v11, v10, -v18
	v_cvt_f64_f32_e32 v[16:17], v15
	v_mul_f64 v[16:17], v[16:17], s[6:7]
	v_and_or_b32 v5, v17, s10, v16
	v_cmp_ne_u32_e32 vcc, 0, v5
	v_lshrrev_b32_e32 v15, 8, v17
	v_bfe_u32 v16, v17, 20, 11
	v_cndmask_b32_e64 v5, 0, 1, vcc
	v_and_or_b32 v5, v15, s14, v5
	v_sub_u32_e32 v20, 0x3f1, v16
	v_or_b32_e32 v15, 0x1000, v5
	v_med3_i32 v20, v20, 0, 13
	v_lshrrev_b32_e32 v21, v20, v15
	v_lshlrev_b32_e32 v20, v20, v21
	v_cmp_ne_u32_e32 vcc, v20, v15
	v_add_u32_e32 v16, 0xfffffc10, v16
	v_lshl_or_b32 v20, v16, 12, v5
	v_cndmask_b32_e64 v15, 0, 1, vcc
	v_or_b32_e32 v15, v21, v15
	v_cmp_gt_i32_e32 vcc, 1, v16
	v_cvt_f32_f16_e32 v10, v10
	v_cvt_f64_f32_e32 v[10:11], v10
	v_cndmask_b32_e32 v15, v20, v15, vcc
	v_and_b32_e32 v20, 7, v15
	v_cmp_lt_i32_e32 vcc, 5, v20
	v_cmp_eq_u32_e64 s[0:1], 3, v20
	v_lshrrev_b32_e32 v15, 2, v15
	s_or_b64 vcc, s[0:1], vcc
	v_addc_co_u32_e32 v15, vcc, 0, v15, vcc
	v_cmp_gt_i32_e32 vcc, 31, v16
	v_mul_f64 v[10:11], v[10:11], s[6:7]
	v_and_or_b32 v10, v11, s10, v10
	v_cndmask_b32_e32 v15, v6, v15, vcc
	v_cmp_ne_u32_e32 vcc, 0, v5
	s_nop 1
	v_cndmask_b32_e64 v5, 0, 1, vcc
	v_lshl_or_b32 v5, v5, 9, v6
	v_cmp_eq_u32_e32 vcc, s15, v16
	v_lshrrev_b32_e32 v16, 8, v11
	s_nop 0
	v_cndmask_b32_e32 v5, v15, v5, vcc
	v_cmp_ne_u32_e32 vcc, 0, v10
	v_and_b32_sdwa v15, v17, s16 dst_sel:DWORD dst_unused:UNUSED_PAD src0_sel:WORD_1 src1_sel:DWORD
	v_bfe_u32 v17, v11, 20, 11
	v_cndmask_b32_e64 v10, 0, 1, vcc
	v_and_or_b32 v10, v16, s14, v10
	v_sub_u32_e32 v18, 0x3f1, v17
	v_or_b32_e32 v16, 0x1000, v10
	v_med3_i32 v18, v18, 0, 13
	v_lshrrev_b32_e32 v20, v18, v16
	v_lshlrev_b32_e32 v18, v18, v20
	v_cmp_ne_u32_e32 vcc, v18, v16
	v_add_u32_e32 v17, 0xfffffc10, v17
	v_lshl_or_b32 v18, v17, 12, v10
	v_cndmask_b32_e64 v16, 0, 1, vcc
	v_or_b32_e32 v16, v20, v16
	v_cmp_gt_i32_e32 vcc, 1, v17
	v_lshrrev_b32_e32 v11, 16, v11
	v_bitop3_b32 v5, v15, s2, v5 bitop3:0xc8
	v_cndmask_b32_e32 v16, v18, v16, vcc
	v_and_b32_e32 v18, 7, v16
	v_cmp_lt_i32_e32 vcc, 5, v18
	v_cmp_eq_u32_e64 s[0:1], 3, v18
	v_lshrrev_b32_e32 v16, 2, v16
	s_or_b64 vcc, s[0:1], vcc
	v_addc_co_u32_e32 v16, vcc, 0, v16, vcc
	v_cmp_gt_i32_e32 vcc, 31, v17
	v_lshrrev_b32_e32 v15, 16, v19
	v_mad_u64_u32 v[2:3], s[0:1], s8, v7, v[2:3]
	v_cndmask_b32_e32 v16, v6, v16, vcc
	v_cmp_ne_u32_e32 vcc, 0, v10
	v_add_u32_e32 v3, s3, v3
	s_nop 0
	v_cndmask_b32_e64 v10, 0, 1, vcc
	v_lshl_or_b32 v10, v10, 9, v6
	v_cmp_eq_u32_e32 vcc, s15, v17
	s_nop 1
	v_cndmask_b32_e32 v10, v16, v10, vcc
	v_and_or_b32 v10, v11, s16, v10
	v_lshl_or_b32 v5, v10, 16, v5
	s_waitcnt vmcnt(6)
	v_mul_f16_sdwa v10, v15, v12 dst_sel:DWORD dst_unused:UNUSED_PAD src0_sel:DWORD src1_sel:WORD_1
	v_fma_f16 v10, v19, v12, v10
	v_cvt_f32_f16_e32 v10, v10
	global_store_dword v[2:3], v5, off
	v_cvt_f64_f32_e32 v[10:11], v10
	v_mul_f64 v[10:11], v[10:11], s[6:7]
	v_and_or_b32 v5, v11, s10, v10
	v_cmp_ne_u32_e32 vcc, 0, v5
	v_lshrrev_b32_e32 v10, 8, v11
	v_bfe_u32 v16, v11, 20, 11
	v_cndmask_b32_e64 v5, 0, 1, vcc
	v_and_or_b32 v5, v10, s14, v5
	v_sub_u32_e32 v17, 0x3f1, v16
	v_or_b32_e32 v10, 0x1000, v5
	v_med3_i32 v17, v17, 0, 13
	v_lshrrev_b32_e32 v18, v17, v10
	v_lshlrev_b32_e32 v17, v17, v18
	v_cmp_ne_u32_e32 vcc, v17, v10
	v_add_u32_e32 v16, 0xfffffc10, v16
	v_lshl_or_b32 v17, v16, 12, v5
	v_cndmask_b32_e64 v10, 0, 1, vcc
	v_or_b32_e32 v10, v18, v10
	v_cmp_gt_i32_e32 vcc, 1, v16
	s_nop 1
	v_cndmask_b32_e32 v10, v17, v10, vcc
	v_and_b32_e32 v17, 7, v10
	v_cmp_lt_i32_e32 vcc, 5, v17
	v_cmp_eq_u32_e64 s[0:1], 3, v17
	v_lshrrev_b32_e32 v10, 2, v10
	s_or_b64 vcc, s[0:1], vcc
	v_mul_f16_sdwa v17, v19, v12 dst_sel:DWORD dst_unused:UNUSED_PAD src0_sel:DWORD src1_sel:WORD_1
	v_addc_co_u32_e32 v10, vcc, 0, v10, vcc
	v_fma_f16 v12, v12, v15, -v17
	v_cmp_gt_i32_e32 vcc, 31, v16
	v_cvt_f32_f16_e32 v12, v12
	v_and_b32_sdwa v15, v11, s16 dst_sel:DWORD dst_unused:UNUSED_PAD src0_sel:WORD_1 src1_sel:DWORD
	v_cndmask_b32_e32 v10, v6, v10, vcc
	v_cmp_ne_u32_e32 vcc, 0, v5
	s_nop 1
	v_cndmask_b32_e64 v5, 0, 1, vcc
	v_lshl_or_b32 v5, v5, 9, v6
	v_cmp_eq_u32_e32 vcc, s15, v16
	s_nop 1
	v_cndmask_b32_e32 v5, v10, v5, vcc
	v_cvt_f64_f32_e32 v[10:11], v12
	v_mul_f64 v[10:11], v[10:11], s[6:7]
	v_and_or_b32 v10, v11, s10, v10
	v_cmp_ne_u32_e32 vcc, 0, v10
	v_lshrrev_b32_e32 v12, 8, v11
	v_bfe_u32 v16, v11, 20, 11
	v_cndmask_b32_e64 v10, 0, 1, vcc
	v_and_or_b32 v10, v12, s14, v10
	v_sub_u32_e32 v17, 0x3f1, v16
	v_or_b32_e32 v12, 0x1000, v10
	v_med3_i32 v17, v17, 0, 13
	v_lshrrev_b32_e32 v18, v17, v12
	v_lshlrev_b32_e32 v17, v17, v18
	v_cmp_ne_u32_e32 vcc, v17, v12
	v_add_u32_e32 v16, 0xfffffc10, v16
	v_lshl_or_b32 v17, v16, 12, v10
	v_cndmask_b32_e64 v12, 0, 1, vcc
	v_or_b32_e32 v12, v18, v12
	v_cmp_gt_i32_e32 vcc, 1, v16
	v_lshrrev_b32_e32 v11, 16, v11
	v_bitop3_b32 v5, v15, s2, v5 bitop3:0xc8
	v_cndmask_b32_e32 v12, v17, v12, vcc
	v_and_b32_e32 v17, 7, v12
	v_cmp_lt_i32_e32 vcc, 5, v17
	v_cmp_eq_u32_e64 s[0:1], 3, v17
	v_lshrrev_b32_e32 v12, 2, v12
	s_or_b64 vcc, s[0:1], vcc
	v_addc_co_u32_e32 v12, vcc, 0, v12, vcc
	v_cmp_gt_i32_e32 vcc, 31, v16
	v_mad_u64_u32 v[2:3], s[0:1], s8, v7, v[2:3]
	s_nop 0
	v_cndmask_b32_e32 v12, v6, v12, vcc
	v_cmp_ne_u32_e32 vcc, 0, v10
	v_add_u32_e32 v3, s3, v3
	s_nop 0
	v_cndmask_b32_e64 v10, 0, 1, vcc
	v_cmp_eq_u32_e32 vcc, s15, v16
	ds_read2_b32 v[16:17], v8 offset0:100 offset1:120
	v_lshl_or_b32 v10, v10, 9, v6
	v_cndmask_b32_e32 v10, v12, v10, vcc
	v_and_or_b32 v10, v11, s16, v10
	v_lshl_or_b32 v5, v10, 16, v5
	s_waitcnt lgkmcnt(0)
	v_lshrrev_b32_e32 v12, 16, v16
	s_waitcnt vmcnt(6)
	v_mul_f16_sdwa v10, v12, v13 dst_sel:DWORD dst_unused:UNUSED_PAD src0_sel:DWORD src1_sel:WORD_1
	v_fma_f16 v10, v16, v13, v10
	v_cvt_f32_f16_e32 v10, v10
	global_store_dword v[2:3], v5, off
	v_mul_f16_sdwa v16, v16, v13 dst_sel:DWORD dst_unused:UNUSED_PAD src0_sel:DWORD src1_sel:WORD_1
	v_fma_f16 v12, v13, v12, -v16
	v_cvt_f64_f32_e32 v[10:11], v10
	v_mul_f64 v[10:11], v[10:11], s[6:7]
	v_and_or_b32 v5, v11, s10, v10
	v_cmp_ne_u32_e32 vcc, 0, v5
	v_lshrrev_b32_e32 v10, 8, v11
	v_bfe_u32 v15, v11, 20, 11
	v_cndmask_b32_e64 v5, 0, 1, vcc
	v_and_or_b32 v5, v10, s14, v5
	v_sub_u32_e32 v18, 0x3f1, v15
	v_or_b32_e32 v10, 0x1000, v5
	v_med3_i32 v18, v18, 0, 13
	v_lshrrev_b32_e32 v19, v18, v10
	v_lshlrev_b32_e32 v18, v18, v19
	v_cmp_ne_u32_e32 vcc, v18, v10
	v_add_u32_e32 v15, 0xfffffc10, v15
	v_lshl_or_b32 v18, v15, 12, v5
	v_cndmask_b32_e64 v10, 0, 1, vcc
	v_or_b32_e32 v10, v19, v10
	v_cmp_gt_i32_e32 vcc, 1, v15
	v_cvt_f32_f16_e32 v12, v12
	v_and_b32_sdwa v13, v11, s16 dst_sel:DWORD dst_unused:UNUSED_PAD src0_sel:WORD_1 src1_sel:DWORD
	v_cndmask_b32_e32 v10, v18, v10, vcc
	v_and_b32_e32 v18, 7, v10
	v_cmp_lt_i32_e32 vcc, 5, v18
	v_cmp_eq_u32_e64 s[0:1], 3, v18
	v_lshrrev_b32_e32 v10, 2, v10
	s_or_b64 vcc, s[0:1], vcc
	v_addc_co_u32_e32 v10, vcc, 0, v10, vcc
	v_cmp_gt_i32_e32 vcc, 31, v15
	s_nop 1
	v_cndmask_b32_e32 v10, v6, v10, vcc
	v_cmp_ne_u32_e32 vcc, 0, v5
	s_nop 1
	v_cndmask_b32_e64 v5, 0, 1, vcc
	v_lshl_or_b32 v5, v5, 9, v6
	v_cmp_eq_u32_e32 vcc, s15, v15
	s_nop 1
	v_cndmask_b32_e32 v5, v10, v5, vcc
	v_cvt_f64_f32_e32 v[10:11], v12
	v_mul_f64 v[10:11], v[10:11], s[6:7]
	v_and_or_b32 v10, v11, s10, v10
	v_cmp_ne_u32_e32 vcc, 0, v10
	v_lshrrev_b32_e32 v12, 8, v11
	v_bfe_u32 v15, v11, 20, 11
	v_cndmask_b32_e64 v10, 0, 1, vcc
	v_and_or_b32 v10, v12, s14, v10
	v_sub_u32_e32 v16, 0x3f1, v15
	v_or_b32_e32 v12, 0x1000, v10
	v_med3_i32 v16, v16, 0, 13
	v_lshrrev_b32_e32 v18, v16, v12
	v_lshlrev_b32_e32 v16, v16, v18
	v_cmp_ne_u32_e32 vcc, v16, v12
	v_add_u32_e32 v15, 0xfffffc10, v15
	v_lshl_or_b32 v16, v15, 12, v10
	v_cndmask_b32_e64 v12, 0, 1, vcc
	v_or_b32_e32 v12, v18, v12
	v_cmp_gt_i32_e32 vcc, 1, v15
	v_lshrrev_b32_e32 v11, 16, v11
	v_bitop3_b32 v5, v13, s2, v5 bitop3:0xc8
	v_cndmask_b32_e32 v12, v16, v12, vcc
	v_and_b32_e32 v16, 7, v12
	v_cmp_lt_i32_e32 vcc, 5, v16
	v_cmp_eq_u32_e64 s[0:1], 3, v16
	v_lshrrev_b32_e32 v12, 2, v12
	s_or_b64 vcc, s[0:1], vcc
	v_addc_co_u32_e32 v12, vcc, 0, v12, vcc
	v_cmp_gt_i32_e32 vcc, 31, v15
	s_nop 1
	v_cndmask_b32_e32 v12, v6, v12, vcc
	v_cmp_ne_u32_e32 vcc, 0, v10
	s_nop 1
	v_cndmask_b32_e64 v10, 0, 1, vcc
	v_lshl_or_b32 v10, v10, 9, v6
	v_cmp_eq_u32_e32 vcc, s15, v15
	s_nop 1
	v_cndmask_b32_e32 v10, v12, v10, vcc
	v_and_or_b32 v10, v11, s16, v10
	v_lshrrev_b32_e32 v12, 16, v17
	v_lshl_or_b32 v5, v10, 16, v5
	s_waitcnt vmcnt(6)
	v_mul_f16_sdwa v10, v12, v14 dst_sel:DWORD dst_unused:UNUSED_PAD src0_sel:DWORD src1_sel:WORD_1
	v_fma_f16 v10, v17, v14, v10
	v_cvt_f32_f16_e32 v13, v10
	v_mad_u64_u32 v[10:11], s[0:1], s8, v7, v[2:3]
	v_add_u32_e32 v11, s3, v11
	v_cvt_f64_f32_e32 v[2:3], v13
	v_mul_f64 v[2:3], v[2:3], s[6:7]
	v_and_or_b32 v2, v3, s10, v2
	v_cmp_ne_u32_e32 vcc, 0, v2
	global_store_dword v[10:11], v5, off
	v_lshrrev_b32_e32 v5, 8, v3
	v_cndmask_b32_e64 v2, 0, 1, vcc
	v_bfe_u32 v13, v3, 20, 11
	v_and_or_b32 v2, v5, s14, v2
	v_sub_u32_e32 v15, 0x3f1, v13
	v_or_b32_e32 v5, 0x1000, v2
	v_med3_i32 v15, v15, 0, 13
	v_lshrrev_b32_e32 v16, v15, v5
	v_lshlrev_b32_e32 v15, v15, v16
	v_cmp_ne_u32_e32 vcc, v15, v5
	v_add_u32_e32 v13, 0xfffffc10, v13
	v_lshl_or_b32 v15, v13, 12, v2
	v_cndmask_b32_e64 v5, 0, 1, vcc
	v_or_b32_e32 v5, v16, v5
	v_cmp_gt_i32_e32 vcc, 1, v13
	s_nop 1
	v_cndmask_b32_e32 v5, v15, v5, vcc
	v_and_b32_e32 v15, 7, v5
	v_cmp_lt_i32_e32 vcc, 5, v15
	v_cmp_eq_u32_e64 s[0:1], 3, v15
	v_lshrrev_b32_e32 v5, 2, v5
	s_or_b64 vcc, s[0:1], vcc
	v_mul_f16_sdwa v15, v17, v14 dst_sel:DWORD dst_unused:UNUSED_PAD src0_sel:DWORD src1_sel:WORD_1
	v_addc_co_u32_e32 v5, vcc, 0, v5, vcc
	v_fma_f16 v12, v14, v12, -v15
	v_cmp_gt_i32_e32 vcc, 31, v13
	v_cvt_f32_f16_e32 v12, v12
	v_and_b32_sdwa v14, v3, s16 dst_sel:DWORD dst_unused:UNUSED_PAD src0_sel:WORD_1 src1_sel:DWORD
	v_cndmask_b32_e32 v5, v6, v5, vcc
	v_cmp_ne_u32_e32 vcc, 0, v2
	s_nop 1
	v_cndmask_b32_e64 v2, 0, 1, vcc
	v_lshl_or_b32 v2, v2, 9, v6
	v_cmp_eq_u32_e32 vcc, s15, v13
	s_nop 1
	v_cndmask_b32_e32 v5, v5, v2, vcc
	v_cvt_f64_f32_e32 v[2:3], v12
	v_mul_f64 v[12:13], v[2:3], s[6:7]
	v_and_or_b32 v2, v13, s10, v12
	v_cmp_ne_u32_e32 vcc, 0, v2
	v_lshrrev_b32_e32 v3, 8, v13
	v_bfe_u32 v12, v13, 20, 11
	v_cndmask_b32_e64 v2, 0, 1, vcc
	v_and_or_b32 v2, v3, s14, v2
	v_sub_u32_e32 v15, 0x3f1, v12
	v_or_b32_e32 v3, 0x1000, v2
	v_med3_i32 v15, v15, 0, 13
	v_lshrrev_b32_e32 v16, v15, v3
	v_lshlrev_b32_e32 v15, v15, v16
	v_cmp_ne_u32_e32 vcc, v15, v3
	v_add_u32_e32 v12, 0xfffffc10, v12
	v_lshl_or_b32 v15, v12, 12, v2
	v_cndmask_b32_e64 v3, 0, 1, vcc
	v_or_b32_e32 v3, v16, v3
	v_cmp_gt_i32_e32 vcc, 1, v12
	v_lshrrev_b32_e32 v13, 16, v13
	v_bitop3_b32 v5, v14, s2, v5 bitop3:0xc8
	v_cndmask_b32_e32 v3, v15, v3, vcc
	v_and_b32_e32 v15, 7, v3
	v_cmp_lt_i32_e32 vcc, 5, v15
	v_cmp_eq_u32_e64 s[0:1], 3, v15
	v_lshrrev_b32_e32 v3, 2, v3
	s_or_b64 vcc, s[0:1], vcc
	v_addc_co_u32_e32 v3, vcc, 0, v3, vcc
	v_cmp_gt_i32_e32 vcc, 31, v12
	v_mad_u64_u32 v[10:11], s[0:1], s8, v7, v[10:11]
	s_nop 0
	v_cndmask_b32_e32 v3, v6, v3, vcc
	v_cmp_ne_u32_e32 vcc, 0, v2
	v_add_u32_e32 v11, s3, v11
	s_nop 0
	v_cndmask_b32_e64 v2, 0, 1, vcc
	v_lshl_or_b32 v2, v2, 9, v6
	v_cmp_eq_u32_e32 vcc, s15, v12
	s_nop 1
	v_cndmask_b32_e32 v12, v3, v2, vcc
	ds_read2_b32 v[2:3], v8 offset0:140 offset1:160
	v_and_or_b32 v12, v13, s16, v12
	v_lshl_or_b32 v5, v12, 16, v5
	global_store_dword v[10:11], v5, off
	s_waitcnt lgkmcnt(0)
	v_lshrrev_b32_e32 v14, 16, v2
	s_waitcnt vmcnt(7)
	v_mul_f16_sdwa v12, v14, v4 dst_sel:DWORD dst_unused:UNUSED_PAD src0_sel:DWORD src1_sel:WORD_1
	v_fma_f16 v12, v2, v4, v12
	v_cvt_f32_f16_e32 v12, v12
	v_mul_f16_sdwa v2, v2, v4 dst_sel:DWORD dst_unused:UNUSED_PAD src0_sel:DWORD src1_sel:WORD_1
	v_fma_f16 v2, v4, v14, -v2
	v_cvt_f32_f16_e32 v2, v2
	v_cvt_f64_f32_e32 v[12:13], v12
	v_mul_f64 v[12:13], v[12:13], s[6:7]
	v_and_or_b32 v5, v13, s10, v12
	global_load_dword v12, v22, s[12:13] offset:640
	v_cmp_ne_u32_e32 vcc, 0, v5
	v_lshrrev_b32_e32 v15, 8, v13
	v_bfe_u32 v16, v13, 20, 11
	v_cndmask_b32_e64 v5, 0, 1, vcc
	v_and_or_b32 v5, v15, s14, v5
	v_sub_u32_e32 v17, 0x3f1, v16
	v_or_b32_e32 v15, 0x1000, v5
	v_med3_i32 v17, v17, 0, 13
	v_lshrrev_b32_e32 v18, v17, v15
	v_lshlrev_b32_e32 v17, v17, v18
	v_cmp_ne_u32_e32 vcc, v17, v15
	v_add_u32_e32 v16, 0xfffffc10, v16
	v_lshl_or_b32 v17, v16, 12, v5
	v_cndmask_b32_e64 v15, 0, 1, vcc
	v_or_b32_e32 v15, v18, v15
	v_cmp_gt_i32_e32 vcc, 1, v16
	v_and_b32_sdwa v13, v13, s16 dst_sel:DWORD dst_unused:UNUSED_PAD src0_sel:WORD_1 src1_sel:DWORD
	s_nop 0
	v_cndmask_b32_e32 v15, v17, v15, vcc
	v_and_b32_e32 v17, 7, v15
	v_cmp_lt_i32_e32 vcc, 5, v17
	v_cmp_eq_u32_e64 s[0:1], 3, v17
	v_lshrrev_b32_e32 v15, 2, v15
	s_or_b64 vcc, s[0:1], vcc
	v_addc_co_u32_e32 v15, vcc, 0, v15, vcc
	v_cmp_gt_i32_e32 vcc, 31, v16
	s_nop 1
	v_cndmask_b32_e32 v15, v6, v15, vcc
	v_cmp_ne_u32_e32 vcc, 0, v5
	s_nop 1
	v_cndmask_b32_e64 v5, 0, 1, vcc
	v_lshl_or_b32 v5, v5, 9, v6
	v_cmp_eq_u32_e32 vcc, s15, v16
	s_nop 1
	v_cndmask_b32_e32 v14, v15, v5, vcc
	v_cvt_f64_f32_e32 v[4:5], v2
	v_mul_f64 v[4:5], v[4:5], s[6:7]
	v_and_or_b32 v2, v5, s10, v4
	v_cmp_ne_u32_e32 vcc, 0, v2
	v_lshrrev_b32_e32 v4, 8, v5
	v_bfe_u32 v15, v5, 20, 11
	v_cndmask_b32_e64 v2, 0, 1, vcc
	v_and_or_b32 v2, v4, s14, v2
	v_sub_u32_e32 v16, 0x3f1, v15
	v_or_b32_e32 v4, 0x1000, v2
	v_med3_i32 v16, v16, 0, 13
	v_lshrrev_b32_e32 v17, v16, v4
	v_lshlrev_b32_e32 v16, v16, v17
	v_cmp_ne_u32_e32 vcc, v16, v4
	v_add_u32_e32 v15, 0xfffffc10, v15
	v_lshl_or_b32 v16, v15, 12, v2
	v_cndmask_b32_e64 v4, 0, 1, vcc
	v_or_b32_e32 v4, v17, v4
	v_cmp_gt_i32_e32 vcc, 1, v15
	s_nop 1
	v_cndmask_b32_e32 v4, v16, v4, vcc
	v_and_b32_e32 v16, 7, v4
	v_cmp_lt_i32_e32 vcc, 5, v16
	v_cmp_eq_u32_e64 s[0:1], 3, v16
	v_lshrrev_b32_e32 v4, 2, v4
	s_or_b64 vcc, s[0:1], vcc
	v_addc_co_u32_e32 v4, vcc, 0, v4, vcc
	v_cmp_gt_i32_e32 vcc, 31, v15
	s_nop 1
	v_cndmask_b32_e32 v4, v6, v4, vcc
	v_cmp_ne_u32_e32 vcc, 0, v2
	s_nop 1
	v_cndmask_b32_e64 v2, 0, 1, vcc
	v_lshl_or_b32 v2, v2, 9, v6
	v_cmp_eq_u32_e32 vcc, s15, v15
	s_nop 1
	v_cndmask_b32_e32 v2, v4, v2, vcc
	v_lshrrev_b32_e32 v4, 16, v5
	v_and_or_b32 v2, v4, s16, v2
	v_bitop3_b32 v4, v13, s2, v14 bitop3:0xc8
	global_load_dword v14, v22, s[12:13] offset:720
	global_load_dword v15, v22, s[12:13] offset:800
	;; [unrolled: 1-line block ×4, first 2 shown]
	v_lshrrev_b32_e32 v13, 16, v3
	v_lshl_or_b32 v2, v2, 16, v4
	v_mad_u64_u32 v[4:5], s[0:1], s8, v7, v[10:11]
	s_waitcnt vmcnt(4)
	v_mul_f16_sdwa v10, v13, v12 dst_sel:DWORD dst_unused:UNUSED_PAD src0_sel:DWORD src1_sel:WORD_1
	v_fma_f16 v10, v3, v12, v10
	v_cvt_f32_f16_e32 v10, v10
	v_add_u32_e32 v5, s3, v5
	global_store_dword v[4:5], v2, off
	v_mul_f16_sdwa v3, v3, v12 dst_sel:DWORD dst_unused:UNUSED_PAD src0_sel:DWORD src1_sel:WORD_1
	v_cvt_f64_f32_e32 v[10:11], v10
	v_mul_f64 v[10:11], v[10:11], s[6:7]
	v_and_or_b32 v2, v11, s10, v10
	v_cmp_ne_u32_e32 vcc, 0, v2
	v_lshrrev_b32_e32 v10, 8, v11
	v_bfe_u32 v18, v11, 20, 11
	v_cndmask_b32_e64 v2, 0, 1, vcc
	v_and_or_b32 v2, v10, s14, v2
	v_sub_u32_e32 v19, 0x3f1, v18
	v_or_b32_e32 v10, 0x1000, v2
	v_med3_i32 v19, v19, 0, 13
	v_lshrrev_b32_e32 v20, v19, v10
	v_lshlrev_b32_e32 v19, v19, v20
	v_cmp_ne_u32_e32 vcc, v19, v10
	v_add_u32_e32 v18, 0xfffffc10, v18
	v_lshl_or_b32 v19, v18, 12, v2
	v_cndmask_b32_e64 v10, 0, 1, vcc
	v_or_b32_e32 v10, v20, v10
	v_cmp_gt_i32_e32 vcc, 1, v18
	v_fma_f16 v3, v12, v13, -v3
	v_cvt_f32_f16_e32 v3, v3
	v_cndmask_b32_e32 v10, v19, v10, vcc
	v_and_b32_e32 v19, 7, v10
	v_cmp_lt_i32_e32 vcc, 5, v19
	v_cmp_eq_u32_e64 s[0:1], 3, v19
	v_lshrrev_b32_e32 v10, 2, v10
	s_or_b64 vcc, s[0:1], vcc
	v_addc_co_u32_e32 v10, vcc, 0, v10, vcc
	v_cmp_gt_i32_e32 vcc, 31, v18
	v_and_b32_sdwa v19, v11, s16 dst_sel:DWORD dst_unused:UNUSED_PAD src0_sel:WORD_1 src1_sel:DWORD
	s_nop 0
	v_cndmask_b32_e32 v10, v6, v10, vcc
	v_cmp_ne_u32_e32 vcc, 0, v2
	s_nop 1
	v_cndmask_b32_e64 v2, 0, 1, vcc
	v_lshl_or_b32 v2, v2, 9, v6
	v_cmp_eq_u32_e32 vcc, s15, v18
	s_nop 1
	v_cndmask_b32_e32 v18, v10, v2, vcc
	v_cvt_f64_f32_e32 v[2:3], v3
	v_mul_f64 v[2:3], v[2:3], s[6:7]
	v_and_or_b32 v2, v3, s10, v2
	v_cmp_ne_u32_e32 vcc, 0, v2
	v_lshrrev_b32_e32 v10, 8, v3
	v_bfe_u32 v11, v3, 20, 11
	v_cndmask_b32_e64 v2, 0, 1, vcc
	v_and_or_b32 v2, v10, s14, v2
	v_sub_u32_e32 v12, 0x3f1, v11
	v_or_b32_e32 v10, 0x1000, v2
	v_med3_i32 v12, v12, 0, 13
	v_lshrrev_b32_e32 v13, v12, v10
	v_lshlrev_b32_e32 v12, v12, v13
	v_cmp_ne_u32_e32 vcc, v12, v10
	v_add_u32_e32 v11, 0xfffffc10, v11
	v_lshl_or_b32 v12, v11, 12, v2
	v_cndmask_b32_e64 v10, 0, 1, vcc
	v_or_b32_e32 v10, v13, v10
	v_cmp_gt_i32_e32 vcc, 1, v11
	v_lshrrev_b32_e32 v3, 16, v3
	s_nop 0
	v_cndmask_b32_e32 v10, v12, v10, vcc
	v_and_b32_e32 v12, 7, v10
	v_cmp_lt_i32_e32 vcc, 5, v12
	v_cmp_eq_u32_e64 s[0:1], 3, v12
	v_lshrrev_b32_e32 v10, 2, v10
	s_or_b64 vcc, s[0:1], vcc
	v_addc_co_u32_e32 v10, vcc, 0, v10, vcc
	v_cmp_gt_i32_e32 vcc, 31, v11
	ds_read2_b32 v[12:13], v8 offset0:180 offset1:200
	s_nop 0
	v_cndmask_b32_e32 v10, v6, v10, vcc
	v_cmp_ne_u32_e32 vcc, 0, v2
	s_nop 1
	v_cndmask_b32_e64 v2, 0, 1, vcc
	v_lshl_or_b32 v2, v2, 9, v6
	v_cmp_eq_u32_e32 vcc, s15, v11
	s_nop 1
	v_cndmask_b32_e32 v2, v10, v2, vcc
	v_and_or_b32 v20, v3, s16, v2
	v_mad_u64_u32 v[2:3], s[0:1], s8, v9, 0
	v_mov_b32_e32 v10, v3
	v_mad_u64_u32 v[10:11], s[0:1], s9, v9, v[10:11]
	v_mov_b32_e32 v3, v10
	s_waitcnt lgkmcnt(0)
	v_lshrrev_b32_e32 v10, 16, v12
	s_waitcnt vmcnt(4)
	v_mul_f16_sdwa v11, v10, v14 dst_sel:DWORD dst_unused:UNUSED_PAD src0_sel:DWORD src1_sel:WORD_1
	v_fma_f16 v11, v12, v14, v11
	v_cvt_f32_f16_e32 v11, v11
	v_bitop3_b32 v9, v19, s2, v18 bitop3:0xc8
	v_lshl_or_b32 v9, v20, 16, v9
	v_lshl_add_u64 v[0:1], v[2:3], 2, v[0:1]
	global_store_dword v[0:1], v9, off
	v_cvt_f64_f32_e32 v[0:1], v11
	v_mul_f64 v[0:1], v[0:1], s[6:7]
	v_and_or_b32 v0, v1, s10, v0
	v_cmp_ne_u32_e32 vcc, 0, v0
	v_lshrrev_b32_e32 v2, 8, v1
	v_bfe_u32 v3, v1, 20, 11
	v_cndmask_b32_e64 v0, 0, 1, vcc
	v_and_or_b32 v0, v2, s14, v0
	v_sub_u32_e32 v9, 0x3f1, v3
	v_or_b32_e32 v2, 0x1000, v0
	v_med3_i32 v9, v9, 0, 13
	v_lshrrev_b32_e32 v11, v9, v2
	v_lshlrev_b32_e32 v9, v9, v11
	v_cmp_ne_u32_e32 vcc, v9, v2
	v_add_u32_e32 v3, 0xfffffc10, v3
	v_lshl_or_b32 v9, v3, 12, v0
	v_cndmask_b32_e64 v2, 0, 1, vcc
	v_or_b32_e32 v2, v11, v2
	v_cmp_gt_i32_e32 vcc, 1, v3
	s_nop 1
	v_cndmask_b32_e32 v2, v9, v2, vcc
	v_and_b32_e32 v9, 7, v2
	v_cmp_lt_i32_e32 vcc, 5, v9
	v_cmp_eq_u32_e64 s[0:1], 3, v9
	v_lshrrev_b32_e32 v2, 2, v2
	s_or_b64 vcc, s[0:1], vcc
	v_mul_f16_sdwa v9, v12, v14 dst_sel:DWORD dst_unused:UNUSED_PAD src0_sel:DWORD src1_sel:WORD_1
	v_addc_co_u32_e32 v2, vcc, 0, v2, vcc
	v_fma_f16 v9, v14, v10, -v9
	v_cmp_gt_i32_e32 vcc, 31, v3
	v_cvt_f32_f16_e32 v9, v9
	s_nop 0
	v_cndmask_b32_e32 v2, v6, v2, vcc
	v_cmp_ne_u32_e32 vcc, 0, v0
	s_nop 1
	v_cndmask_b32_e64 v0, 0, 1, vcc
	v_lshl_or_b32 v0, v0, 9, v6
	v_cmp_eq_u32_e32 vcc, s15, v3
	v_and_b32_sdwa v3, v1, s16 dst_sel:DWORD dst_unused:UNUSED_PAD src0_sel:WORD_1 src1_sel:DWORD
	s_nop 0
	v_cndmask_b32_e32 v2, v2, v0, vcc
	v_cvt_f64_f32_e32 v[0:1], v9
	v_mul_f64 v[0:1], v[0:1], s[6:7]
	v_and_or_b32 v0, v1, s10, v0
	v_cmp_ne_u32_e32 vcc, 0, v0
	v_lshrrev_b32_e32 v9, 8, v1
	v_bfe_u32 v10, v1, 20, 11
	v_cndmask_b32_e64 v0, 0, 1, vcc
	v_and_or_b32 v0, v9, s14, v0
	v_sub_u32_e32 v11, 0x3f1, v10
	v_or_b32_e32 v9, 0x1000, v0
	v_med3_i32 v11, v11, 0, 13
	v_lshrrev_b32_e32 v12, v11, v9
	v_lshlrev_b32_e32 v11, v11, v12
	v_cmp_ne_u32_e32 vcc, v11, v9
	v_add_u32_e32 v10, 0xfffffc10, v10
	v_lshl_or_b32 v11, v10, 12, v0
	v_cndmask_b32_e64 v9, 0, 1, vcc
	v_or_b32_e32 v9, v12, v9
	v_cmp_gt_i32_e32 vcc, 1, v10
	v_lshrrev_b32_e32 v1, 16, v1
	s_nop 0
	v_cndmask_b32_e32 v9, v11, v9, vcc
	v_and_b32_e32 v11, 7, v9
	v_cmp_lt_i32_e32 vcc, 5, v11
	v_cmp_eq_u32_e64 s[0:1], 3, v11
	v_lshrrev_b32_e32 v9, 2, v9
	s_or_b64 vcc, s[0:1], vcc
	v_addc_co_u32_e32 v9, vcc, 0, v9, vcc
	v_cmp_gt_i32_e32 vcc, 31, v10
	s_nop 1
	v_cndmask_b32_e32 v9, v6, v9, vcc
	v_cmp_ne_u32_e32 vcc, 0, v0
	s_nop 1
	v_cndmask_b32_e64 v0, 0, 1, vcc
	v_lshl_or_b32 v0, v0, 9, v6
	v_cmp_eq_u32_e32 vcc, s15, v10
	s_nop 1
	v_cndmask_b32_e32 v0, v9, v0, vcc
	v_and_or_b32 v0, v1, s16, v0
	v_bitop3_b32 v1, v3, s2, v2 bitop3:0xc8
	v_lshl_or_b32 v2, v0, 16, v1
	v_mov_b32_e32 v0, 0xa0
	v_mad_u64_u32 v[0:1], s[0:1], s8, v0, v[4:5]
	v_lshrrev_b32_e32 v4, 16, v13
	s_waitcnt vmcnt(4)
	v_mul_f16_sdwa v3, v4, v15 dst_sel:DWORD dst_unused:UNUSED_PAD src0_sel:DWORD src1_sel:WORD_1
	v_fma_f16 v3, v13, v15, v3
	v_cvt_f32_f16_e32 v3, v3
	s_mul_i32 s0, s9, 0xa0
	v_add_u32_e32 v1, s0, v1
	global_store_dword v[0:1], v2, off
	v_cvt_f64_f32_e32 v[2:3], v3
	v_mul_f64 v[2:3], v[2:3], s[6:7]
	v_and_or_b32 v2, v3, s10, v2
	v_cmp_ne_u32_e32 vcc, 0, v2
	v_lshrrev_b32_e32 v5, 8, v3
	v_bfe_u32 v9, v3, 20, 11
	v_cndmask_b32_e64 v2, 0, 1, vcc
	v_and_or_b32 v2, v5, s14, v2
	v_sub_u32_e32 v10, 0x3f1, v9
	v_or_b32_e32 v5, 0x1000, v2
	v_med3_i32 v10, v10, 0, 13
	v_lshrrev_b32_e32 v11, v10, v5
	v_lshlrev_b32_e32 v10, v10, v11
	v_cmp_ne_u32_e32 vcc, v10, v5
	v_add_u32_e32 v9, 0xfffffc10, v9
	v_lshl_or_b32 v10, v9, 12, v2
	v_cndmask_b32_e64 v5, 0, 1, vcc
	v_or_b32_e32 v5, v11, v5
	v_cmp_gt_i32_e32 vcc, 1, v9
	s_nop 1
	v_cndmask_b32_e32 v5, v10, v5, vcc
	v_and_b32_e32 v10, 7, v5
	v_cmp_lt_i32_e32 vcc, 5, v10
	v_cmp_eq_u32_e64 s[0:1], 3, v10
	v_lshrrev_b32_e32 v5, 2, v5
	s_or_b64 vcc, s[0:1], vcc
	v_mul_f16_sdwa v10, v13, v15 dst_sel:DWORD dst_unused:UNUSED_PAD src0_sel:DWORD src1_sel:WORD_1
	v_addc_co_u32_e32 v5, vcc, 0, v5, vcc
	v_fma_f16 v4, v15, v4, -v10
	v_cmp_gt_i32_e32 vcc, 31, v9
	v_cvt_f32_f16_e32 v4, v4
	v_and_b32_sdwa v10, v3, s16 dst_sel:DWORD dst_unused:UNUSED_PAD src0_sel:WORD_1 src1_sel:DWORD
	v_cndmask_b32_e32 v5, v6, v5, vcc
	v_cmp_ne_u32_e32 vcc, 0, v2
	s_nop 1
	v_cndmask_b32_e64 v2, 0, 1, vcc
	v_lshl_or_b32 v2, v2, 9, v6
	v_cmp_eq_u32_e32 vcc, s15, v9
	s_nop 1
	v_cndmask_b32_e32 v9, v5, v2, vcc
	v_cvt_f64_f32_e32 v[2:3], v4
	v_mul_f64 v[2:3], v[2:3], s[6:7]
	v_and_or_b32 v2, v3, s10, v2
	v_cmp_ne_u32_e32 vcc, 0, v2
	v_lshrrev_b32_e32 v4, 8, v3
	v_bfe_u32 v5, v3, 20, 11
	v_cndmask_b32_e64 v2, 0, 1, vcc
	v_and_or_b32 v2, v4, s14, v2
	v_sub_u32_e32 v11, 0x3f1, v5
	v_or_b32_e32 v4, 0x1000, v2
	v_med3_i32 v11, v11, 0, 13
	v_lshrrev_b32_e32 v12, v11, v4
	v_lshlrev_b32_e32 v11, v11, v12
	v_cmp_ne_u32_e32 vcc, v11, v4
	v_add_u32_e32 v5, 0xfffffc10, v5
	v_lshl_or_b32 v11, v5, 12, v2
	v_cndmask_b32_e64 v4, 0, 1, vcc
	v_or_b32_e32 v4, v12, v4
	v_cmp_gt_i32_e32 vcc, 1, v5
	v_lshrrev_b32_e32 v3, 16, v3
	s_nop 0
	v_cndmask_b32_e32 v4, v11, v4, vcc
	v_and_b32_e32 v11, 7, v4
	v_cmp_lt_i32_e32 vcc, 5, v11
	v_cmp_eq_u32_e64 s[0:1], 3, v11
	v_lshrrev_b32_e32 v4, 2, v4
	s_or_b64 vcc, s[0:1], vcc
	v_addc_co_u32_e32 v4, vcc, 0, v4, vcc
	v_cmp_gt_i32_e32 vcc, 31, v5
	v_mad_u64_u32 v[0:1], s[0:1], s8, v7, v[0:1]
	s_nop 0
	v_cndmask_b32_e32 v4, v6, v4, vcc
	v_cmp_ne_u32_e32 vcc, 0, v2
	v_add_u32_e32 v1, s3, v1
	s_nop 0
	v_cndmask_b32_e64 v2, 0, 1, vcc
	v_lshl_or_b32 v2, v2, 9, v6
	v_cmp_eq_u32_e32 vcc, s15, v5
	s_nop 1
	v_cndmask_b32_e32 v2, v4, v2, vcc
	ds_read2_b32 v[4:5], v8 offset0:220 offset1:240
	v_and_or_b32 v2, v3, s16, v2
	v_bitop3_b32 v3, v10, s2, v9 bitop3:0xc8
	v_lshl_or_b32 v2, v2, 16, v3
	global_store_dword v[0:1], v2, off
	s_waitcnt lgkmcnt(0)
	v_lshrrev_b32_e32 v8, 16, v4
	s_waitcnt vmcnt(5)
	v_mul_f16_sdwa v3, v8, v16 dst_sel:DWORD dst_unused:UNUSED_PAD src0_sel:DWORD src1_sel:WORD_1
	v_fma_f16 v3, v4, v16, v3
	v_cvt_f32_f16_e32 v3, v3
	v_mul_f16_sdwa v4, v4, v16 dst_sel:DWORD dst_unused:UNUSED_PAD src0_sel:DWORD src1_sel:WORD_1
	v_fma_f16 v4, v16, v8, -v4
	v_cvt_f32_f16_e32 v4, v4
	v_cvt_f64_f32_e32 v[2:3], v3
	v_mul_f64 v[2:3], v[2:3], s[6:7]
	v_and_or_b32 v2, v3, s10, v2
	v_cmp_ne_u32_e32 vcc, 0, v2
	v_lshrrev_b32_e32 v9, 8, v3
	v_bfe_u32 v10, v3, 20, 11
	v_cndmask_b32_e64 v2, 0, 1, vcc
	v_and_or_b32 v2, v9, s14, v2
	v_sub_u32_e32 v11, 0x3f1, v10
	v_or_b32_e32 v9, 0x1000, v2
	v_med3_i32 v11, v11, 0, 13
	v_lshrrev_b32_e32 v12, v11, v9
	v_lshlrev_b32_e32 v11, v11, v12
	v_cmp_ne_u32_e32 vcc, v11, v9
	v_add_u32_e32 v10, 0xfffffc10, v10
	v_lshl_or_b32 v11, v10, 12, v2
	v_cndmask_b32_e64 v9, 0, 1, vcc
	v_or_b32_e32 v9, v12, v9
	v_cmp_gt_i32_e32 vcc, 1, v10
	s_nop 1
	v_cndmask_b32_e32 v9, v11, v9, vcc
	v_and_b32_e32 v11, 7, v9
	v_cmp_lt_i32_e32 vcc, 5, v11
	v_cmp_eq_u32_e64 s[0:1], 3, v11
	v_lshrrev_b32_e32 v9, 2, v9
	s_or_b64 vcc, s[0:1], vcc
	v_addc_co_u32_e32 v9, vcc, 0, v9, vcc
	v_cmp_gt_i32_e32 vcc, 31, v10
	s_nop 1
	v_cndmask_b32_e32 v9, v6, v9, vcc
	v_cmp_ne_u32_e32 vcc, 0, v2
	s_nop 1
	v_cndmask_b32_e64 v2, 0, 1, vcc
	v_lshl_or_b32 v2, v2, 9, v6
	v_cmp_eq_u32_e32 vcc, s15, v10
	s_nop 1
	v_cndmask_b32_e32 v8, v9, v2, vcc
	v_and_b32_sdwa v9, v3, s16 dst_sel:DWORD dst_unused:UNUSED_PAD src0_sel:WORD_1 src1_sel:DWORD
	v_cvt_f64_f32_e32 v[2:3], v4
	v_mul_f64 v[2:3], v[2:3], s[6:7]
	v_and_or_b32 v2, v3, s10, v2
	v_cmp_ne_u32_e32 vcc, 0, v2
	v_lshrrev_b32_e32 v4, 8, v3
	v_bfe_u32 v10, v3, 20, 11
	v_cndmask_b32_e64 v2, 0, 1, vcc
	v_and_or_b32 v2, v4, s14, v2
	v_sub_u32_e32 v11, 0x3f1, v10
	v_or_b32_e32 v4, 0x1000, v2
	v_med3_i32 v11, v11, 0, 13
	v_lshrrev_b32_e32 v12, v11, v4
	v_lshlrev_b32_e32 v11, v11, v12
	v_cmp_ne_u32_e32 vcc, v11, v4
	v_add_u32_e32 v10, 0xfffffc10, v10
	v_lshl_or_b32 v11, v10, 12, v2
	v_cndmask_b32_e64 v4, 0, 1, vcc
	v_or_b32_e32 v4, v12, v4
	v_cmp_gt_i32_e32 vcc, 1, v10
	v_lshrrev_b32_e32 v3, 16, v3
	s_nop 0
	v_cndmask_b32_e32 v4, v11, v4, vcc
	v_and_b32_e32 v11, 7, v4
	v_cmp_lt_i32_e32 vcc, 5, v11
	v_cmp_eq_u32_e64 s[0:1], 3, v11
	v_lshrrev_b32_e32 v4, 2, v4
	s_or_b64 vcc, s[0:1], vcc
	v_addc_co_u32_e32 v4, vcc, 0, v4, vcc
	v_cmp_gt_i32_e32 vcc, 31, v10
	v_mad_u64_u32 v[0:1], s[0:1], s8, v7, v[0:1]
	s_nop 0
	v_cndmask_b32_e32 v4, v6, v4, vcc
	v_cmp_ne_u32_e32 vcc, 0, v2
	v_add_u32_e32 v1, s3, v1
	s_nop 0
	v_cndmask_b32_e64 v2, 0, 1, vcc
	v_lshl_or_b32 v2, v2, 9, v6
	v_cmp_eq_u32_e32 vcc, s15, v10
	s_nop 1
	v_cndmask_b32_e32 v2, v4, v2, vcc
	v_and_or_b32 v2, v3, s16, v2
	v_bitop3_b32 v3, v9, s2, v8 bitop3:0xc8
	v_lshrrev_b32_e32 v4, 16, v5
	v_lshl_or_b32 v2, v2, 16, v3
	s_waitcnt vmcnt(4)
	v_mul_f16_sdwa v3, v4, v17 dst_sel:DWORD dst_unused:UNUSED_PAD src0_sel:DWORD src1_sel:WORD_1
	v_fma_f16 v3, v5, v17, v3
	v_cvt_f32_f16_e32 v3, v3
	global_store_dword v[0:1], v2, off
	v_mul_f16_sdwa v5, v5, v17 dst_sel:DWORD dst_unused:UNUSED_PAD src0_sel:DWORD src1_sel:WORD_1
	v_fma_f16 v4, v17, v4, -v5
	v_cvt_f64_f32_e32 v[2:3], v3
	v_mul_f64 v[2:3], v[2:3], s[6:7]
	v_and_or_b32 v2, v3, s10, v2
	v_cmp_ne_u32_e32 vcc, 0, v2
	v_lshrrev_b32_e32 v8, 8, v3
	v_bfe_u32 v9, v3, 20, 11
	v_cndmask_b32_e64 v2, 0, 1, vcc
	v_and_or_b32 v2, v8, s14, v2
	v_sub_u32_e32 v10, 0x3f1, v9
	v_or_b32_e32 v8, 0x1000, v2
	v_med3_i32 v10, v10, 0, 13
	v_lshrrev_b32_e32 v11, v10, v8
	v_lshlrev_b32_e32 v10, v10, v11
	v_cmp_ne_u32_e32 vcc, v10, v8
	v_add_u32_e32 v9, 0xfffffc10, v9
	v_lshl_or_b32 v10, v9, 12, v2
	v_cndmask_b32_e64 v8, 0, 1, vcc
	v_or_b32_e32 v8, v11, v8
	v_cmp_gt_i32_e32 vcc, 1, v9
	v_cvt_f32_f16_e32 v4, v4
	s_nop 0
	v_cndmask_b32_e32 v8, v10, v8, vcc
	v_and_b32_e32 v10, 7, v8
	v_cmp_lt_i32_e32 vcc, 5, v10
	v_cmp_eq_u32_e64 s[0:1], 3, v10
	v_lshrrev_b32_e32 v8, 2, v8
	s_or_b64 vcc, s[0:1], vcc
	v_addc_co_u32_e32 v8, vcc, 0, v8, vcc
	v_cmp_gt_i32_e32 vcc, 31, v9
	s_nop 1
	v_cndmask_b32_e32 v8, v6, v8, vcc
	v_cmp_ne_u32_e32 vcc, 0, v2
	s_nop 1
	v_cndmask_b32_e64 v2, 0, 1, vcc
	v_lshl_or_b32 v2, v2, 9, v6
	v_cmp_eq_u32_e32 vcc, s15, v9
	s_nop 1
	v_cndmask_b32_e32 v5, v8, v2, vcc
	v_and_b32_sdwa v8, v3, s16 dst_sel:DWORD dst_unused:UNUSED_PAD src0_sel:WORD_1 src1_sel:DWORD
	v_cvt_f64_f32_e32 v[2:3], v4
	v_mul_f64 v[2:3], v[2:3], s[6:7]
	v_and_or_b32 v2, v3, s10, v2
	v_cmp_ne_u32_e32 vcc, 0, v2
	v_lshrrev_b32_e32 v4, 8, v3
	v_bfe_u32 v9, v3, 20, 11
	v_cndmask_b32_e64 v2, 0, 1, vcc
	v_and_or_b32 v2, v4, s14, v2
	v_sub_u32_e32 v10, 0x3f1, v9
	v_or_b32_e32 v4, 0x1000, v2
	v_med3_i32 v10, v10, 0, 13
	v_lshrrev_b32_e32 v11, v10, v4
	v_lshlrev_b32_e32 v10, v10, v11
	v_cmp_ne_u32_e32 vcc, v10, v4
	v_add_u32_e32 v9, 0xfffffc10, v9
	v_lshl_or_b32 v10, v9, 12, v2
	v_cndmask_b32_e64 v4, 0, 1, vcc
	v_or_b32_e32 v4, v11, v4
	v_cmp_gt_i32_e32 vcc, 1, v9
	v_lshrrev_b32_e32 v3, 16, v3
	s_nop 0
	v_cndmask_b32_e32 v4, v10, v4, vcc
	v_and_b32_e32 v10, 7, v4
	v_cmp_lt_i32_e32 vcc, 5, v10
	v_cmp_eq_u32_e64 s[0:1], 3, v10
	v_lshrrev_b32_e32 v4, 2, v4
	s_or_b64 vcc, s[0:1], vcc
	v_addc_co_u32_e32 v4, vcc, 0, v4, vcc
	v_cmp_gt_i32_e32 vcc, 31, v9
	v_mad_u64_u32 v[0:1], s[0:1], s8, v7, v[0:1]
	s_nop 0
	v_cndmask_b32_e32 v4, v6, v4, vcc
	v_cmp_ne_u32_e32 vcc, 0, v2
	v_add_u32_e32 v1, s3, v1
	s_nop 0
	v_cndmask_b32_e64 v2, 0, 1, vcc
	v_lshl_or_b32 v2, v2, 9, v6
	v_cmp_eq_u32_e32 vcc, s15, v9
	s_nop 1
	v_cndmask_b32_e32 v2, v4, v2, vcc
	v_and_or_b32 v2, v3, s16, v2
	v_bitop3_b32 v3, v8, s2, v5 bitop3:0xc8
	v_lshl_or_b32 v2, v2, 16, v3
	global_store_dword v[0:1], v2, off
.LBB0_15:
	s_endpgm
	.section	.rodata,"a",@progbits
	.p2align	6, 0x0
	.amdhsa_kernel bluestein_single_back_len260_dim1_half_op_CI_CI
		.amdhsa_group_segment_fixed_size 2080
		.amdhsa_private_segment_fixed_size 0
		.amdhsa_kernarg_size 104
		.amdhsa_user_sgpr_count 2
		.amdhsa_user_sgpr_dispatch_ptr 0
		.amdhsa_user_sgpr_queue_ptr 0
		.amdhsa_user_sgpr_kernarg_segment_ptr 1
		.amdhsa_user_sgpr_dispatch_id 0
		.amdhsa_user_sgpr_kernarg_preload_length 0
		.amdhsa_user_sgpr_kernarg_preload_offset 0
		.amdhsa_user_sgpr_private_segment_size 0
		.amdhsa_uses_dynamic_stack 0
		.amdhsa_enable_private_segment 0
		.amdhsa_system_sgpr_workgroup_id_x 1
		.amdhsa_system_sgpr_workgroup_id_y 0
		.amdhsa_system_sgpr_workgroup_id_z 0
		.amdhsa_system_sgpr_workgroup_info 0
		.amdhsa_system_vgpr_workitem_id 0
		.amdhsa_next_free_vgpr 134
		.amdhsa_next_free_sgpr 28
		.amdhsa_accum_offset 136
		.amdhsa_reserve_vcc 1
		.amdhsa_float_round_mode_32 0
		.amdhsa_float_round_mode_16_64 0
		.amdhsa_float_denorm_mode_32 3
		.amdhsa_float_denorm_mode_16_64 3
		.amdhsa_dx10_clamp 1
		.amdhsa_ieee_mode 1
		.amdhsa_fp16_overflow 0
		.amdhsa_tg_split 0
		.amdhsa_exception_fp_ieee_invalid_op 0
		.amdhsa_exception_fp_denorm_src 0
		.amdhsa_exception_fp_ieee_div_zero 0
		.amdhsa_exception_fp_ieee_overflow 0
		.amdhsa_exception_fp_ieee_underflow 0
		.amdhsa_exception_fp_ieee_inexact 0
		.amdhsa_exception_int_div_zero 0
	.end_amdhsa_kernel
	.text
.Lfunc_end0:
	.size	bluestein_single_back_len260_dim1_half_op_CI_CI, .Lfunc_end0-bluestein_single_back_len260_dim1_half_op_CI_CI
                                        ; -- End function
	.section	.AMDGPU.csdata,"",@progbits
; Kernel info:
; codeLenInByte = 19388
; NumSgprs: 34
; NumVgprs: 134
; NumAgprs: 0
; TotalNumVgprs: 134
; ScratchSize: 0
; MemoryBound: 0
; FloatMode: 240
; IeeeMode: 1
; LDSByteSize: 2080 bytes/workgroup (compile time only)
; SGPRBlocks: 4
; VGPRBlocks: 16
; NumSGPRsForWavesPerEU: 34
; NumVGPRsForWavesPerEU: 134
; AccumOffset: 136
; Occupancy: 3
; WaveLimiterHint : 1
; COMPUTE_PGM_RSRC2:SCRATCH_EN: 0
; COMPUTE_PGM_RSRC2:USER_SGPR: 2
; COMPUTE_PGM_RSRC2:TRAP_HANDLER: 0
; COMPUTE_PGM_RSRC2:TGID_X_EN: 1
; COMPUTE_PGM_RSRC2:TGID_Y_EN: 0
; COMPUTE_PGM_RSRC2:TGID_Z_EN: 0
; COMPUTE_PGM_RSRC2:TIDIG_COMP_CNT: 0
; COMPUTE_PGM_RSRC3_GFX90A:ACCUM_OFFSET: 33
; COMPUTE_PGM_RSRC3_GFX90A:TG_SPLIT: 0
	.text
	.p2alignl 6, 3212836864
	.fill 256, 4, 3212836864
	.type	__hip_cuid_a6f95403081d0258,@object ; @__hip_cuid_a6f95403081d0258
	.section	.bss,"aw",@nobits
	.globl	__hip_cuid_a6f95403081d0258
__hip_cuid_a6f95403081d0258:
	.byte	0                               ; 0x0
	.size	__hip_cuid_a6f95403081d0258, 1

	.ident	"AMD clang version 19.0.0git (https://github.com/RadeonOpenCompute/llvm-project roc-6.4.0 25133 c7fe45cf4b819c5991fe208aaa96edf142730f1d)"
	.section	".note.GNU-stack","",@progbits
	.addrsig
	.addrsig_sym __hip_cuid_a6f95403081d0258
	.amdgpu_metadata
---
amdhsa.kernels:
  - .agpr_count:     0
    .args:
      - .actual_access:  read_only
        .address_space:  global
        .offset:         0
        .size:           8
        .value_kind:     global_buffer
      - .actual_access:  read_only
        .address_space:  global
        .offset:         8
        .size:           8
        .value_kind:     global_buffer
      - .actual_access:  read_only
        .address_space:  global
        .offset:         16
        .size:           8
        .value_kind:     global_buffer
      - .actual_access:  read_only
        .address_space:  global
        .offset:         24
        .size:           8
        .value_kind:     global_buffer
      - .actual_access:  read_only
        .address_space:  global
        .offset:         32
        .size:           8
        .value_kind:     global_buffer
      - .offset:         40
        .size:           8
        .value_kind:     by_value
      - .address_space:  global
        .offset:         48
        .size:           8
        .value_kind:     global_buffer
      - .address_space:  global
        .offset:         56
        .size:           8
        .value_kind:     global_buffer
      - .address_space:  global
        .offset:         64
        .size:           8
        .value_kind:     global_buffer
      - .address_space:  global
        .offset:         72
        .size:           8
        .value_kind:     global_buffer
      - .offset:         80
        .size:           4
        .value_kind:     by_value
      - .address_space:  global
        .offset:         88
        .size:           8
        .value_kind:     global_buffer
      - .address_space:  global
        .offset:         96
        .size:           8
        .value_kind:     global_buffer
    .group_segment_fixed_size: 2080
    .kernarg_segment_align: 8
    .kernarg_segment_size: 104
    .language:       OpenCL C
    .language_version:
      - 2
      - 0
    .max_flat_workgroup_size: 52
    .name:           bluestein_single_back_len260_dim1_half_op_CI_CI
    .private_segment_fixed_size: 0
    .sgpr_count:     34
    .sgpr_spill_count: 0
    .symbol:         bluestein_single_back_len260_dim1_half_op_CI_CI.kd
    .uniform_work_group_size: 1
    .uses_dynamic_stack: false
    .vgpr_count:     134
    .vgpr_spill_count: 0
    .wavefront_size: 64
amdhsa.target:   amdgcn-amd-amdhsa--gfx950
amdhsa.version:
  - 1
  - 2
...

	.end_amdgpu_metadata
